;; amdgpu-corpus repo=ROCm/rocFFT kind=compiled arch=gfx906 opt=O3
	.text
	.amdgcn_target "amdgcn-amd-amdhsa--gfx906"
	.amdhsa_code_object_version 6
	.protected	bluestein_single_back_len1176_dim1_half_op_CI_CI ; -- Begin function bluestein_single_back_len1176_dim1_half_op_CI_CI
	.globl	bluestein_single_back_len1176_dim1_half_op_CI_CI
	.p2align	8
	.type	bluestein_single_back_len1176_dim1_half_op_CI_CI,@function
bluestein_single_back_len1176_dim1_half_op_CI_CI: ; @bluestein_single_back_len1176_dim1_half_op_CI_CI
; %bb.0:
	s_load_dwordx4 s[8:11], s[4:5], 0x28
	v_mul_u32_u24_e32 v1, 0x493, v0
	v_add_u32_sdwa v26, s6, v1 dst_sel:DWORD dst_unused:UNUSED_PAD src0_sel:DWORD src1_sel:WORD_1
	v_mov_b32_e32 v27, 0
	s_waitcnt lgkmcnt(0)
	v_cmp_gt_u64_e32 vcc, s[8:9], v[26:27]
	s_and_saveexec_b64 s[0:1], vcc
	s_cbranch_execz .LBB0_31
; %bb.1:
	s_load_dwordx4 s[12:15], s[4:5], 0x18
	v_mov_b32_e32 v2, 56
	v_mul_lo_u16_sdwa v1, v1, v2 dst_sel:DWORD dst_unused:UNUSED_PAD src0_sel:WORD_1 src1_sel:DWORD
	v_sub_u16_e32 v81, v0, v1
	v_lshlrev_b32_e32 v61, 2, v81
	s_waitcnt lgkmcnt(0)
	s_load_dwordx4 s[0:3], s[12:13], 0x0
	v_or_b32_e32 v66, 0x1c0, v81
	v_mov_b32_e32 v19, 0xe0
	s_waitcnt lgkmcnt(0)
	v_mad_u64_u32 v[0:1], s[6:7], s2, v26, 0
	v_mad_u64_u32 v[2:3], s[6:7], s0, v81, 0
	s_mul_i32 s6, s1, 0x24c
	s_mul_hi_u32 s7, s0, 0x24c
	v_mad_u64_u32 v[4:5], s[2:3], s3, v26, v[1:2]
	s_add_i32 s7, s7, s6
	s_mul_i32 s6, s0, 0x24c
	v_mad_u64_u32 v[5:6], s[2:3], s1, v81, v[3:4]
	v_mov_b32_e32 v1, v4
	v_lshlrev_b64 v[0:1], 2, v[0:1]
	s_load_dwordx2 s[2:3], s[4:5], 0x0
	v_mov_b32_e32 v6, s11
	v_mov_b32_e32 v3, v5
	v_add_co_u32_e32 v7, vcc, s10, v0
	v_addc_co_u32_e32 v6, vcc, v6, v1, vcc
	v_lshlrev_b64 v[0:1], 2, v[2:3]
	s_lshl_b64 s[12:13], s[6:7], 2
	v_add_co_u32_e32 v0, vcc, v7, v0
	v_addc_co_u32_e32 v1, vcc, v6, v1, vcc
	s_waitcnt lgkmcnt(0)
	global_load_dword v83, v61, s[2:3]
	v_mov_b32_e32 v8, s13
	v_add_co_u32_e32 v2, vcc, s12, v0
	v_addc_co_u32_e32 v3, vcc, v1, v8, vcc
	global_load_dword v4, v[0:1], off
	global_load_dword v5, v[2:3], off
	global_load_dword v82, v61, s[2:3] offset:2352
	s_mul_hi_u32 s7, s0, 0xfffffdec
	s_mul_i32 s6, s1, 0xfffffdec
	s_sub_i32 s7, s7, s0
	s_add_i32 s7, s7, s6
	s_mul_i32 s6, s0, 0xfffffdec
	s_lshl_b64 s[16:17], s[6:7], 2
	v_mov_b32_e32 v9, s17
	v_add_co_u32_e32 v0, vcc, s16, v2
	v_addc_co_u32_e32 v1, vcc, v3, v9, vcc
	global_load_dword v2, v[0:1], off
	global_load_dword v80, v61, s[2:3] offset:224
	v_add_co_u32_e32 v0, vcc, s12, v0
	v_addc_co_u32_e32 v1, vcc, v1, v8, vcc
	global_load_dword v3, v[0:1], off
	global_load_dword v79, v61, s[2:3] offset:2576
	;; [unrolled: 4-line block ×5, first 2 shown]
	v_add_co_u32_e32 v0, vcc, s12, v0
	v_addc_co_u32_e32 v1, vcc, v1, v8, vcc
	v_mov_b32_e32 v14, s3
	v_add_co_u32_e32 v24, vcc, s2, v61
	v_addc_co_u32_e32 v25, vcc, 0, v14, vcc
	global_load_dword v13, v[0:1], off
	s_load_dwordx2 s[6:7], s[4:5], 0x38
	s_load_dwordx4 s[8:11], s[14:15], 0x0
	global_load_dword v75, v61, s[2:3] offset:3024
	global_load_dword v73, v61, s[2:3] offset:3248
	;; [unrolled: 1-line block ×8, first 2 shown]
	v_add_co_u32_e32 v0, vcc, s16, v0
	v_addc_co_u32_e32 v1, vcc, v1, v9, vcc
	global_load_dword v63, v61, s[2:3] offset:2016
	s_waitcnt vmcnt(22)
	v_lshrrev_b32_e32 v14, 16, v4
	v_mul_f16_sdwa v15, v83, v4 dst_sel:DWORD dst_unused:UNUSED_PAD src0_sel:WORD_1 src1_sel:DWORD
	v_mul_f16_sdwa v16, v83, v14 dst_sel:DWORD dst_unused:UNUSED_PAD src0_sel:WORD_1 src1_sel:DWORD
	v_fma_f16 v14, v83, v14, -v15
	s_waitcnt vmcnt(21)
	v_lshrrev_b32_e32 v15, 16, v5
	v_fma_f16 v4, v83, v4, v16
	v_pack_b32_f16 v4, v4, v14
	s_waitcnt vmcnt(20)
	v_mul_f16_sdwa v14, v82, v15 dst_sel:DWORD dst_unused:UNUSED_PAD src0_sel:WORD_1 src1_sel:DWORD
	v_fma_f16 v14, v82, v5, v14
	v_mul_f16_sdwa v5, v82, v5 dst_sel:DWORD dst_unused:UNUSED_PAD src0_sel:WORD_1 src1_sel:DWORD
	v_fma_f16 v5, v82, v15, -v5
	v_pack_b32_f16 v5, v14, v5
	ds_write_b32 v61, v5 offset:2352
	s_waitcnt vmcnt(19)
	v_lshrrev_b32_e32 v5, 16, v2
	s_waitcnt vmcnt(18)
	v_mul_f16_sdwa v14, v80, v5 dst_sel:DWORD dst_unused:UNUSED_PAD src0_sel:WORD_1 src1_sel:DWORD
	v_fma_f16 v14, v80, v2, v14
	v_mul_f16_sdwa v2, v80, v2 dst_sel:DWORD dst_unused:UNUSED_PAD src0_sel:WORD_1 src1_sel:DWORD
	v_fma_f16 v2, v80, v5, -v2
	v_pack_b32_f16 v2, v14, v2
	ds_write2_b32 v61, v4, v2 offset1:56
	s_waitcnt vmcnt(17)
	v_lshrrev_b32_e32 v2, 16, v3
	s_waitcnt vmcnt(16)
	v_mul_f16_sdwa v4, v79, v2 dst_sel:DWORD dst_unused:UNUSED_PAD src0_sel:WORD_1 src1_sel:DWORD
	v_fma_f16 v4, v79, v3, v4
	v_mul_f16_sdwa v3, v79, v3 dst_sel:DWORD dst_unused:UNUSED_PAD src0_sel:WORD_1 src1_sel:DWORD
	v_fma_f16 v2, v79, v2, -v3
	v_pack_b32_f16 v3, v4, v2
	s_waitcnt vmcnt(15)
	v_lshrrev_b32_e32 v2, 16, v10
	s_waitcnt vmcnt(14)
	v_mul_f16_sdwa v4, v78, v2 dst_sel:DWORD dst_unused:UNUSED_PAD src0_sel:WORD_1 src1_sel:DWORD
	v_mul_f16_sdwa v5, v78, v10 dst_sel:DWORD dst_unused:UNUSED_PAD src0_sel:WORD_1 src1_sel:DWORD
	v_fma_f16 v4, v78, v10, v4
	v_fma_f16 v2, v78, v2, -v5
	v_pack_b32_f16 v4, v4, v2
	s_waitcnt vmcnt(13)
	v_lshrrev_b32_e32 v2, 16, v11
	s_waitcnt vmcnt(12)
	v_mul_f16_sdwa v5, v77, v2 dst_sel:DWORD dst_unused:UNUSED_PAD src0_sel:WORD_1 src1_sel:DWORD
	v_mul_f16_sdwa v10, v77, v11 dst_sel:DWORD dst_unused:UNUSED_PAD src0_sel:WORD_1 src1_sel:DWORD
	v_fma_f16 v5, v77, v11, v5
	v_fma_f16 v2, v77, v2, -v10
	v_pack_b32_f16 v5, v5, v2
	v_add_u32_e32 v2, 0x800, v61
	ds_write2_b32 v2, v3, v5 offset0:132 offset1:188
	s_waitcnt vmcnt(11)
	v_lshrrev_b32_e32 v3, 16, v12
	s_waitcnt vmcnt(10)
	v_mul_f16_sdwa v10, v76, v12 dst_sel:DWORD dst_unused:UNUSED_PAD src0_sel:WORD_1 src1_sel:DWORD
	v_mul_f16_sdwa v5, v76, v3 dst_sel:DWORD dst_unused:UNUSED_PAD src0_sel:WORD_1 src1_sel:DWORD
	v_fma_f16 v3, v76, v3, -v10
	global_load_dword v10, v[0:1], off
	v_add_co_u32_e32 v0, vcc, s12, v0
	v_addc_co_u32_e32 v1, vcc, v1, v8, vcc
	v_fma_f16 v5, v76, v12, v5
	global_load_dword v12, v[0:1], off
	v_add_co_u32_e32 v0, vcc, s16, v0
	v_addc_co_u32_e32 v1, vcc, v1, v9, vcc
	global_load_dword v14, v[0:1], off
	v_add_co_u32_e32 v0, vcc, s12, v0
	v_addc_co_u32_e32 v1, vcc, v1, v8, vcc
	;; [unrolled: 3-line block ×3, first 2 shown]
	global_load_dword v16, v[0:1], off
	v_pack_b32_f16 v3, v5, v3
	ds_write2_b32 v61, v4, v3 offset0:112 offset1:168
	v_add_co_u32_e32 v0, vcc, s12, v0
	v_mad_u64_u32 v[3:4], s[14:15], s0, v66, 0
	v_addc_co_u32_e32 v1, vcc, v1, v8, vcc
	global_load_dword v17, v[0:1], off
	global_load_dword v70, v61, s[2:3] offset:3696
	v_add_co_u32_e32 v0, vcc, s16, v0
	v_addc_co_u32_e32 v1, vcc, v1, v9, vcc
	v_mad_u64_u32 v[4:5], s[14:15], s1, v66, v[4:5]
	global_load_dword v18, v[0:1], off
	v_add_co_u32_e32 v0, vcc, s12, v0
	v_addc_co_u32_e32 v1, vcc, v1, v8, vcc
	v_lshlrev_b64 v[3:4], 2, v[3:4]
	global_load_dword v5, v[0:1], off
	global_load_dword v68, v61, s[2:3] offset:3920
	v_mad_u64_u32 v[0:1], s[14:15], s0, v19, v[0:1]
	v_add_co_u32_e32 v3, vcc, v7, v3
	v_addc_co_u32_e32 v4, vcc, v6, v4, vcc
	global_load_dword v6, v[3:4], off
	s_mul_i32 s0, s1, 0xe0
	v_add_u32_e32 v1, s0, v1
	s_movk_i32 s0, 0x1000
	v_add_co_u32_e32 v3, vcc, s0, v24
	global_load_dword v7, v[0:1], off
	v_addc_co_u32_e32 v4, vcc, 0, v25, vcc
	global_load_dword v65, v[3:4], off offset:48
	v_add_co_u32_e32 v0, vcc, s16, v0
	v_addc_co_u32_e32 v1, vcc, v1, v9, vcc
	global_load_dword v9, v[0:1], off
	v_add_co_u32_e32 v0, vcc, s12, v0
	v_addc_co_u32_e32 v1, vcc, v1, v8, vcc
	global_load_dword v8, v[0:1], off
	global_load_dword v62, v[3:4], off offset:272
	s_waitcnt vmcnt(25)
	v_lshrrev_b32_e32 v11, 16, v13
	s_waitcnt vmcnt(24)
	v_mul_f16_sdwa v19, v75, v11 dst_sel:DWORD dst_unused:UNUSED_PAD src0_sel:WORD_1 src1_sel:DWORD
	v_fma_f16 v19, v75, v13, v19
	v_mul_f16_sdwa v13, v75, v13 dst_sel:DWORD dst_unused:UNUSED_PAD src0_sel:WORD_1 src1_sel:DWORD
	v_fma_f16 v11, v75, v11, -v13
	v_pack_b32_f16 v3, v19, v11
	v_cmp_gt_u16_e64 s[0:1], 28, v81
	s_waitcnt vmcnt(15)
	v_lshrrev_b32_e32 v4, 16, v10
	v_mul_f16_sdwa v11, v74, v4 dst_sel:DWORD dst_unused:UNUSED_PAD src0_sel:WORD_1 src1_sel:DWORD
	v_fma_f16 v11, v74, v10, v11
	v_mul_f16_sdwa v10, v74, v10 dst_sel:DWORD dst_unused:UNUSED_PAD src0_sel:WORD_1 src1_sel:DWORD
	v_fma_f16 v4, v74, v4, -v10
	v_pack_b32_f16 v4, v11, v4
	s_waitcnt vmcnt(14)
	v_lshrrev_b32_e32 v10, 16, v12
	v_mul_f16_sdwa v11, v73, v10 dst_sel:DWORD dst_unused:UNUSED_PAD src0_sel:WORD_1 src1_sel:DWORD
	v_fma_f16 v11, v73, v12, v11
	v_mul_f16_sdwa v12, v73, v12 dst_sel:DWORD dst_unused:UNUSED_PAD src0_sel:WORD_1 src1_sel:DWORD
	v_fma_f16 v10, v73, v10, -v12
	v_pack_b32_f16 v10, v11, v10
	v_add_u32_e32 v11, 0xa00, v61
	ds_write2_b32 v11, v3, v10 offset0:116 offset1:172
	s_waitcnt vmcnt(13)
	v_lshrrev_b32_e32 v3, 16, v14
	v_mul_f16_sdwa v10, v72, v3 dst_sel:DWORD dst_unused:UNUSED_PAD src0_sel:WORD_1 src1_sel:DWORD
	v_mul_f16_sdwa v11, v72, v14 dst_sel:DWORD dst_unused:UNUSED_PAD src0_sel:WORD_1 src1_sel:DWORD
	v_fma_f16 v10, v72, v14, v10
	v_fma_f16 v3, v72, v3, -v11
	v_pack_b32_f16 v10, v10, v3
	v_add_u32_e32 v3, 0x200, v61
	ds_write2_b32 v3, v4, v10 offset0:96 offset1:152
	s_waitcnt vmcnt(12)
	v_lshrrev_b32_e32 v4, 16, v15
	v_mul_f16_sdwa v10, v71, v4 dst_sel:DWORD dst_unused:UNUSED_PAD src0_sel:WORD_1 src1_sel:DWORD
	v_mul_f16_sdwa v11, v71, v15 dst_sel:DWORD dst_unused:UNUSED_PAD src0_sel:WORD_1 src1_sel:DWORD
	v_fma_f16 v10, v71, v15, v10
	v_fma_f16 v4, v71, v4, -v11
	v_pack_b32_f16 v4, v10, v4
	s_waitcnt vmcnt(11)
	v_lshrrev_b32_e32 v10, 16, v16
	v_mul_f16_sdwa v11, v69, v10 dst_sel:DWORD dst_unused:UNUSED_PAD src0_sel:WORD_1 src1_sel:DWORD
	v_mul_f16_sdwa v12, v69, v16 dst_sel:DWORD dst_unused:UNUSED_PAD src0_sel:WORD_1 src1_sel:DWORD
	v_fma_f16 v11, v69, v16, v11
	v_fma_f16 v10, v69, v10, -v12
	v_pack_b32_f16 v10, v11, v10
	s_waitcnt vmcnt(10)
	v_lshrrev_b32_e32 v11, 16, v17
	s_waitcnt vmcnt(9)
	v_mul_f16_sdwa v12, v70, v11 dst_sel:DWORD dst_unused:UNUSED_PAD src0_sel:WORD_1 src1_sel:DWORD
	v_mul_f16_sdwa v13, v70, v17 dst_sel:DWORD dst_unused:UNUSED_PAD src0_sel:WORD_1 src1_sel:DWORD
	v_fma_f16 v12, v70, v17, v12
	v_fma_f16 v11, v70, v11, -v13
	v_pack_b32_f16 v11, v12, v11
	v_add_u32_e32 v16, 0xc00, v61
	ds_write2_b32 v16, v4, v11 offset0:100 offset1:156
	s_waitcnt vmcnt(8)
	v_lshrrev_b32_e32 v4, 16, v18
	v_mul_f16_sdwa v11, v67, v4 dst_sel:DWORD dst_unused:UNUSED_PAD src0_sel:WORD_1 src1_sel:DWORD
	v_mul_f16_sdwa v12, v67, v18 dst_sel:DWORD dst_unused:UNUSED_PAD src0_sel:WORD_1 src1_sel:DWORD
	v_fma_f16 v11, v67, v18, v11
	v_fma_f16 v4, v67, v4, -v12
	v_pack_b32_f16 v4, v11, v4
	v_add_u32_e32 v18, 0x400, v61
	ds_write2_b32 v18, v10, v4 offset0:80 offset1:136
	s_waitcnt vmcnt(7)
	v_lshrrev_b32_e32 v4, 16, v5
	s_waitcnt vmcnt(6)
	v_mul_f16_sdwa v10, v68, v4 dst_sel:DWORD dst_unused:UNUSED_PAD src0_sel:WORD_1 src1_sel:DWORD
	v_fma_f16 v10, v68, v5, v10
	v_mul_f16_sdwa v5, v68, v5 dst_sel:DWORD dst_unused:UNUSED_PAD src0_sel:WORD_1 src1_sel:DWORD
	v_fma_f16 v4, v68, v4, -v5
	s_waitcnt vmcnt(5)
	v_lshrrev_b32_e32 v5, 16, v6
	v_pack_b32_f16 v4, v10, v4
	v_mul_f16_sdwa v10, v64, v5 dst_sel:DWORD dst_unused:UNUSED_PAD src0_sel:WORD_1 src1_sel:DWORD
	v_fma_f16 v10, v64, v6, v10
	v_mul_f16_sdwa v6, v64, v6 dst_sel:DWORD dst_unused:UNUSED_PAD src0_sel:WORD_1 src1_sel:DWORD
	v_fma_f16 v5, v64, v5, -v6
	s_waitcnt vmcnt(4)
	v_lshrrev_b32_e32 v6, 16, v7
	v_pack_b32_f16 v5, v10, v5
	s_waitcnt vmcnt(3)
	v_mul_f16_sdwa v10, v65, v6 dst_sel:DWORD dst_unused:UNUSED_PAD src0_sel:WORD_1 src1_sel:DWORD
	v_fma_f16 v10, v65, v7, v10
	v_mul_f16_sdwa v7, v65, v7 dst_sel:DWORD dst_unused:UNUSED_PAD src0_sel:WORD_1 src1_sel:DWORD
	v_fma_f16 v6, v65, v6, -v7
	v_pack_b32_f16 v6, v10, v6
	v_add_u32_e32 v7, 0xe00, v61
	ds_write2_b32 v7, v4, v6 offset0:84 offset1:140
	s_waitcnt vmcnt(2)
	v_lshrrev_b32_e32 v4, 16, v9
	v_mul_f16_sdwa v6, v63, v4 dst_sel:DWORD dst_unused:UNUSED_PAD src0_sel:WORD_1 src1_sel:DWORD
	v_mul_f16_sdwa v7, v63, v9 dst_sel:DWORD dst_unused:UNUSED_PAD src0_sel:WORD_1 src1_sel:DWORD
	v_fma_f16 v6, v63, v9, v6
	v_fma_f16 v4, v63, v4, -v7
	v_pack_b32_f16 v4, v6, v4
	ds_write2_b32 v18, v5, v4 offset0:192 offset1:248
	s_waitcnt vmcnt(1)
	v_lshrrev_b32_e32 v4, 16, v8
	s_waitcnt vmcnt(0)
	v_mul_f16_sdwa v5, v62, v4 dst_sel:DWORD dst_unused:UNUSED_PAD src0_sel:WORD_1 src1_sel:DWORD
	v_mul_f16_sdwa v6, v62, v8 dst_sel:DWORD dst_unused:UNUSED_PAD src0_sel:WORD_1 src1_sel:DWORD
	v_fma_f16 v5, v62, v8, v5
	v_fma_f16 v4, v62, v4, -v6
	v_pack_b32_f16 v4, v5, v4
	ds_write_b32 v61, v4 offset:4368
	s_and_saveexec_b64 s[14:15], s[0:1]
	s_cbranch_execz .LBB0_3
; %bb.2:
	v_mov_b32_e32 v4, s17
	v_add_co_u32_e32 v0, vcc, s16, v0
	v_addc_co_u32_e32 v1, vcc, v1, v4, vcc
	global_load_dword v4, v[0:1], off
	global_load_dword v5, v[24:25], off offset:2240
	v_mov_b32_e32 v6, s13
	v_add_co_u32_e32 v0, vcc, s12, v0
	v_addc_co_u32_e32 v1, vcc, v1, v6, vcc
	global_load_dword v6, v[0:1], off
	v_add_co_u32_e32 v0, vcc, 0x1000, v24
	v_addc_co_u32_e32 v1, vcc, 0, v25, vcc
	global_load_dword v0, v[0:1], off offset:496
	s_waitcnt vmcnt(3)
	v_lshrrev_b32_e32 v1, 16, v4
	s_waitcnt vmcnt(2)
	v_mul_f16_sdwa v7, v5, v4 dst_sel:DWORD dst_unused:UNUSED_PAD src0_sel:WORD_1 src1_sel:DWORD
	v_mul_f16_sdwa v8, v5, v1 dst_sel:DWORD dst_unused:UNUSED_PAD src0_sel:WORD_1 src1_sel:DWORD
	v_fma_f16 v1, v5, v1, -v7
	v_fma_f16 v4, v5, v4, v8
	v_pack_b32_f16 v1, v4, v1
	ds_write_b32 v61, v1 offset:2240
	s_waitcnt vmcnt(1)
	v_lshrrev_b32_e32 v7, 16, v6
	s_waitcnt vmcnt(0)
	v_mul_f16_sdwa v9, v0, v6 dst_sel:DWORD dst_unused:UNUSED_PAD src0_sel:WORD_1 src1_sel:DWORD
	v_mul_f16_sdwa v5, v0, v7 dst_sel:DWORD dst_unused:UNUSED_PAD src0_sel:WORD_1 src1_sel:DWORD
	v_fma_f16 v7, v0, v7, -v9
	v_fma_f16 v0, v0, v6, v5
	v_pack_b32_f16 v0, v0, v7
	ds_write_b32 v61, v0 offset:4592
.LBB0_3:
	s_or_b64 exec, exec, s[14:15]
	s_waitcnt lgkmcnt(0)
	; wave barrier
	s_waitcnt lgkmcnt(0)
	ds_read2_b32 v[10:11], v61 offset1:56
	ds_read2_b32 v[0:1], v2 offset0:76 offset1:132
	ds_read2_b32 v[8:9], v61 offset0:112 offset1:168
	;; [unrolled: 1-line block ×8, first 2 shown]
	v_add_u32_e32 v18, 0x1000, v61
	ds_read2_b32 v[18:19], v18 offset0:12 offset1:68
                                        ; implicit-def: $vgpr20
                                        ; implicit-def: $vgpr21
	s_and_saveexec_b64 s[12:13], s[0:1]
	s_cbranch_execz .LBB0_5
; %bb.4:
	ds_read_b32 v20, v61 offset:2240
	ds_read_b32 v21, v61 offset:4592
.LBB0_5:
	s_or_b64 exec, exec, s[12:13]
	s_waitcnt lgkmcnt(8)
	v_pk_add_f16 v34, v10, v0 neg_lo:[0,1] neg_hi:[0,1]
	v_add_co_u32_e32 v23, vcc, 56, v81
	v_add_co_u32_e32 v22, vcc, 0x70, v81
	v_pk_add_f16 v35, v11, v1 neg_lo:[0,1] neg_hi:[0,1]
	s_waitcnt lgkmcnt(6)
	v_pk_add_f16 v12, v8, v12 neg_lo:[0,1] neg_hi:[0,1]
	v_lshlrev_b32_e32 v88, 3, v81
	v_pk_fma_f16 v33, v10, 2.0, v34 op_sel_hi:[1,0,1] neg_lo:[0,0,1] neg_hi:[0,0,1]
	v_add_co_u32_e32 v32, vcc, 0xa8, v81
	s_movk_i32 s12, 0xe0
	v_pk_add_f16 v13, v9, v13 neg_lo:[0,1] neg_hi:[0,1]
	s_waitcnt lgkmcnt(0)
	; wave barrier
	s_waitcnt lgkmcnt(0)
	ds_write_b64 v88, v[33:34]
	v_lshlrev_b32_e32 v89, 3, v23
	v_pk_fma_f16 v34, v11, 2.0, v35 op_sel_hi:[1,0,1] neg_lo:[0,0,1] neg_hi:[0,0,1]
	v_lshlrev_b32_e32 v90, 3, v22
	v_pk_fma_f16 v11, v8, 2.0, v12 op_sel_hi:[1,0,1] neg_lo:[0,0,1] neg_hi:[0,0,1]
	v_add_co_u32_e32 v31, vcc, s12, v81
	s_movk_i32 s12, 0x118
	v_pk_add_f16 v14, v6, v14 neg_lo:[0,1] neg_hi:[0,1]
	ds_write_b64 v89, v[34:35]
	ds_write_b64 v90, v[11:12]
	v_lshlrev_b32_e32 v92, 3, v32
	v_pk_fma_f16 v12, v9, 2.0, v13 op_sel_hi:[1,0,1] neg_lo:[0,0,1] neg_hi:[0,0,1]
	v_add_co_u32_e32 v30, vcc, s12, v81
	s_movk_i32 s12, 0x150
	v_pk_add_f16 v15, v7, v15 neg_lo:[0,1] neg_hi:[0,1]
	ds_write_b64 v92, v[12:13]
	v_lshlrev_b32_e32 v93, 3, v31
	v_pk_fma_f16 v13, v6, 2.0, v14 op_sel_hi:[1,0,1] neg_lo:[0,0,1] neg_hi:[0,0,1]
	s_load_dwordx2 s[4:5], s[4:5], 0x8
	v_add_co_u32_e32 v29, vcc, s12, v81
	v_pk_add_f16 v16, v4, v16 neg_lo:[0,1] neg_hi:[0,1]
	ds_write_b64 v93, v[13:14]
	v_lshlrev_b32_e32 v94, 3, v30
	v_pk_fma_f16 v14, v7, 2.0, v15 op_sel_hi:[1,0,1] neg_lo:[0,0,1] neg_hi:[0,0,1]
	v_lshlrev_b32_e32 v27, 1, v81
	v_pk_add_f16 v17, v5, v17 neg_lo:[0,1] neg_hi:[0,1]
	ds_write_b64 v94, v[14:15]
	v_lshlrev_b32_e32 v96, 3, v29
	v_pk_fma_f16 v15, v4, 2.0, v16 op_sel_hi:[1,0,1] neg_lo:[0,0,1] neg_hi:[0,0,1]
	s_movk_i32 s12, 0x230
	v_pk_add_f16 v18, v2, v18 neg_lo:[0,1] neg_hi:[0,1]
	ds_write_b64 v96, v[15:16]
	v_pk_fma_f16 v16, v5, 2.0, v17 op_sel_hi:[1,0,1] neg_lo:[0,0,1] neg_hi:[0,0,1]
	v_lshlrev_b32_e32 v4, 2, v27
	v_add_co_u32_e32 v39, vcc, s12, v81
	v_pk_add_f16 v19, v3, v19 neg_lo:[0,1] neg_hi:[0,1]
	v_pk_add_f16 v1, v20, v21 neg_lo:[0,1] neg_hi:[0,1]
	ds_write_b64 v4, v[16:17] offset:3136
	v_lshlrev_b32_e32 v97, 3, v66
	v_pk_fma_f16 v17, v2, 2.0, v18 op_sel_hi:[1,0,1] neg_lo:[0,0,1] neg_hi:[0,0,1]
	v_pk_fma_f16 v0, v20, 2.0, v1 op_sel_hi:[1,0,1] neg_lo:[0,0,1] neg_hi:[0,0,1]
	v_lshlrev_b32_e32 v28, 1, v23
	v_lshlrev_b32_e32 v33, 1, v22
	;; [unrolled: 1-line block ×6, first 2 shown]
	v_add_u32_e32 v103, 0x310, v27
	v_lshlrev_b32_e32 v38, 1, v66
	ds_write_b64 v97, v[17:18]
	v_add_u32_e32 v109, 0x3f0, v27
	v_pk_fma_f16 v18, v3, 2.0, v19 op_sel_hi:[1,0,1] neg_lo:[0,0,1] neg_hi:[0,0,1]
	v_lshlrev_b32_e32 v95, 3, v39
	ds_write_b64 v4, v[18:19] offset:4032
	s_and_saveexec_b64 s[12:13], s[0:1]
	s_cbranch_execz .LBB0_7
; %bb.6:
	ds_write_b64 v95, v[0:1]
.LBB0_7:
	s_or_b64 exec, exec, s[12:13]
	v_add_u32_e32 v2, 0x800, v61
	s_waitcnt lgkmcnt(0)
	; wave barrier
	s_waitcnt lgkmcnt(0)
	ds_read2_b32 v[6:7], v61 offset1:56
	ds_read2_b32 v[12:13], v2 offset0:76 offset1:132
	ds_read2_b32 v[10:11], v61 offset0:112 offset1:168
	;; [unrolled: 1-line block ×3, first 2 shown]
	v_add_u32_e32 v2, 0x200, v61
	ds_read2_b32 v[8:9], v2 offset0:96 offset1:152
	v_add_u32_e32 v2, 0xc00, v61
	v_add_u32_e32 v3, 0x400, v61
	ds_read2_b32 v[16:17], v2 offset0:44 offset1:100
	ds_read2_b32 v[4:5], v3 offset0:80 offset1:136
	;; [unrolled: 1-line block ×4, first 2 shown]
	v_add_u32_e32 v20, 0x1000, v61
	ds_read2_b32 v[20:21], v20 offset0:12 offset1:68
	s_and_saveexec_b64 s[12:13], s[0:1]
	s_cbranch_execz .LBB0_9
; %bb.8:
	ds_read_b32 v0, v61 offset:2240
	ds_read_b32 v1, v61 offset:4592
.LBB0_9:
	s_or_b64 exec, exec, s[12:13]
	v_and_b32_e32 v84, 1, v81
	v_lshlrev_b32_e32 v40, 2, v84
	global_load_dword v86, v40, s[4:5]
	s_waitcnt lgkmcnt(8)
	v_lshrrev_b32_e32 v41, 16, v12
	s_waitcnt lgkmcnt(0)
	v_lshrrev_b32_e32 v60, 16, v1
	v_lshrrev_b32_e32 v57, 16, v20
	;; [unrolled: 1-line block ×5, first 2 shown]
	s_movk_i32 s12, 0x7c
	v_lshrrev_b32_e32 v42, 16, v7
	v_lshrrev_b32_e32 v45, 16, v14
	;; [unrolled: 1-line block ×5, first 2 shown]
	s_waitcnt lgkmcnt(0)
	; wave barrier
	v_lshrrev_b32_e32 v46, 16, v11
	v_lshrrev_b32_e32 v49, 16, v16
	;; [unrolled: 1-line block ×5, first 2 shown]
	s_movk_i32 s13, 0x2fc
	v_lshrrev_b32_e32 v52, 16, v4
	v_lshrrev_b32_e32 v55, 16, v19
	;; [unrolled: 1-line block ×5, first 2 shown]
	s_waitcnt vmcnt(0)
	v_mul_f16_sdwa v85, v41, v86 dst_sel:DWORD dst_unused:UNUSED_PAD src0_sel:DWORD src1_sel:WORD_1
	v_mul_f16_sdwa v87, v12, v86 dst_sel:DWORD dst_unused:UNUSED_PAD src0_sel:DWORD src1_sel:WORD_1
	;; [unrolled: 1-line block ×5, first 2 shown]
	v_fma_f16 v12, v12, v86, -v85
	v_fma_f16 v41, v41, v86, v87
	v_fma_f16 v1, v1, v86, -v117
	v_mul_f16_sdwa v91, v43, v86 dst_sel:DWORD dst_unused:UNUSED_PAD src0_sel:DWORD src1_sel:WORD_1
	v_mul_f16_sdwa v98, v13, v86 dst_sel:DWORD dst_unused:UNUSED_PAD src0_sel:DWORD src1_sel:WORD_1
	;; [unrolled: 1-line block ×4, first 2 shown]
	v_fma_f16 v20, v20, v86, -v113
	v_fma_f16 v60, v60, v86, v118
	v_sub_f16_e32 v12, v6, v12
	v_sub_f16_e32 v85, v40, v41
	;; [unrolled: 1-line block ×3, first 2 shown]
	v_lshrrev_b32_e32 v1, 16, v0
	v_mul_f16_sdwa v110, v18, v86 dst_sel:DWORD dst_unused:UNUSED_PAD src0_sel:DWORD src1_sel:WORD_1
	v_mul_f16_sdwa v116, v21, v86 dst_sel:DWORD dst_unused:UNUSED_PAD src0_sel:DWORD src1_sel:WORD_1
	v_fma_f16 v13, v13, v86, -v91
	v_fma_f16 v43, v43, v86, v98
	v_fma_f16 v21, v21, v86, -v115
	v_fma_f16 v6, v6, 2.0, -v12
	v_fma_f16 v87, v40, 2.0, -v85
	v_sub_f16_e32 v91, v2, v20
	v_sub_f16_e32 v40, v1, v60
	v_fma_f16 v20, v0, 2.0, -v41
	v_and_or_b32 v0, v27, s12, v84
	v_mul_f16_sdwa v99, v45, v86 dst_sel:DWORD dst_unused:UNUSED_PAD src0_sel:DWORD src1_sel:WORD_1
	v_mul_f16_sdwa v100, v14, v86 dst_sel:DWORD dst_unused:UNUSED_PAD src0_sel:DWORD src1_sel:WORD_1
	;; [unrolled: 1-line block ×3, first 2 shown]
	v_fma_f16 v53, v53, v86, v110
	v_sub_f16_e32 v13, v7, v13
	v_sub_f16_e32 v43, v42, v43
	;; [unrolled: 1-line block ×3, first 2 shown]
	v_fma_f16 v21, v1, 2.0, -v40
	v_lshlrev_b32_e32 v98, 2, v0
	v_pack_b32_f16 v0, v6, v87
	v_pack_b32_f16 v1, v12, v85
	s_movk_i32 s12, 0xfc
	v_fma_f16 v14, v14, v86, -v99
	v_fma_f16 v45, v45, v86, v100
	v_fma_f16 v7, v7, 2.0, -v13
	v_fma_f16 v42, v42, 2.0, -v43
	ds_write2_b32 v98, v0, v1 offset1:2
	v_and_or_b32 v0, v28, s12, v84
	v_mul_f16_sdwa v101, v47, v86 dst_sel:DWORD dst_unused:UNUSED_PAD src0_sel:DWORD src1_sel:WORD_1
	v_mul_f16_sdwa v102, v15, v86 dst_sel:DWORD dst_unused:UNUSED_PAD src0_sel:DWORD src1_sel:WORD_1
	v_sub_f16_e32 v14, v10, v14
	v_sub_f16_e32 v45, v44, v45
	v_lshlrev_b32_e32 v99, 2, v0
	v_pack_b32_f16 v0, v7, v42
	v_pack_b32_f16 v1, v13, v43
	s_movk_i32 s12, 0x1fc
	v_fma_f16 v15, v15, v86, -v101
	v_fma_f16 v47, v47, v86, v102
	v_fma_f16 v10, v10, 2.0, -v14
	v_fma_f16 v44, v44, 2.0, -v45
	ds_write2_b32 v99, v0, v1 offset1:2
	v_and_or_b32 v0, v33, s12, v84
	v_mul_f16_sdwa v104, v49, v86 dst_sel:DWORD dst_unused:UNUSED_PAD src0_sel:DWORD src1_sel:WORD_1
	v_mul_f16_sdwa v105, v16, v86 dst_sel:DWORD dst_unused:UNUSED_PAD src0_sel:DWORD src1_sel:WORD_1
	v_sub_f16_e32 v15, v11, v15
	v_sub_f16_e32 v47, v46, v47
	v_lshlrev_b32_e32 v100, 2, v0
	v_pack_b32_f16 v0, v10, v44
	v_pack_b32_f16 v1, v14, v45
	v_fma_f16 v16, v16, v86, -v104
	v_fma_f16 v49, v49, v86, v105
	v_fma_f16 v11, v11, 2.0, -v15
	v_fma_f16 v46, v46, 2.0, -v47
	ds_write2_b32 v100, v0, v1 offset1:2
	v_and_or_b32 v0, v34, s12, v84
	v_mul_f16_sdwa v106, v51, v86 dst_sel:DWORD dst_unused:UNUSED_PAD src0_sel:DWORD src1_sel:WORD_1
	v_mul_f16_sdwa v107, v17, v86 dst_sel:DWORD dst_unused:UNUSED_PAD src0_sel:DWORD src1_sel:WORD_1
	v_sub_f16_e32 v16, v8, v16
	v_sub_f16_e32 v49, v48, v49
	v_lshlrev_b32_e32 v101, 2, v0
	v_pack_b32_f16 v0, v11, v46
	v_pack_b32_f16 v1, v15, v47
	s_movk_i32 s12, 0x3fc
	v_fma_f16 v17, v17, v86, -v106
	v_fma_f16 v51, v51, v86, v107
	v_fma_f16 v8, v8, 2.0, -v16
	v_fma_f16 v48, v48, 2.0, -v49
	ds_write2_b32 v101, v0, v1 offset1:2
	v_and_or_b32 v0, v35, s12, v84
	v_sub_f16_e32 v17, v9, v17
	v_sub_f16_e32 v51, v50, v51
	v_lshlrev_b32_e32 v102, 2, v0
	v_pack_b32_f16 v0, v8, v48
	v_pack_b32_f16 v1, v16, v49
	v_fma_f16 v18, v18, v86, -v108
	v_fma_f16 v9, v9, 2.0, -v17
	v_fma_f16 v50, v50, 2.0, -v51
	ds_write2_b32 v102, v0, v1 offset1:2
	v_and_or_b32 v0, v36, s13, v84
	v_mul_f16_sdwa v111, v55, v86 dst_sel:DWORD dst_unused:UNUSED_PAD src0_sel:DWORD src1_sel:WORD_1
	v_mul_f16_sdwa v112, v19, v86 dst_sel:DWORD dst_unused:UNUSED_PAD src0_sel:DWORD src1_sel:WORD_1
	v_sub_f16_e32 v18, v4, v18
	v_sub_f16_e32 v53, v52, v53
	v_lshlrev_b32_e32 v104, 2, v0
	v_pack_b32_f16 v0, v9, v50
	v_pack_b32_f16 v1, v17, v51
	v_fma_f16 v19, v19, v86, -v111
	v_fma_f16 v55, v55, v86, v112
	v_fma_f16 v4, v4, 2.0, -v18
	v_fma_f16 v52, v52, 2.0, -v53
	ds_write2_b32 v104, v0, v1 offset1:2
	v_and_or_b32 v0, v37, s12, v84
	v_sub_f16_e32 v19, v5, v19
	v_sub_f16_e32 v55, v54, v55
	v_lshlrev_b32_e32 v105, 2, v0
	v_pack_b32_f16 v0, v4, v52
	v_pack_b32_f16 v1, v18, v53
	v_fma_f16 v57, v57, v86, v114
	v_fma_f16 v5, v5, 2.0, -v19
	v_fma_f16 v54, v54, 2.0, -v55
	ds_write2_b32 v105, v0, v1 offset1:2
	v_and_or_b32 v0, v103, s12, v84
	v_sub_f16_e32 v57, v56, v57
	v_lshlrev_b32_e32 v106, 2, v0
	v_pack_b32_f16 v0, v5, v54
	v_pack_b32_f16 v1, v19, v55
	v_fma_f16 v59, v59, v86, v116
	v_fma_f16 v2, v2, 2.0, -v91
	v_fma_f16 v56, v56, 2.0, -v57
	ds_write2_b32 v106, v0, v1 offset1:2
	v_and_or_b32 v0, v38, s12, v84
	v_sub_f16_e32 v59, v58, v59
	v_lshlrev_b32_e32 v107, 2, v0
	v_pack_b32_f16 v0, v2, v56
	v_pack_b32_f16 v1, v91, v57
	s_movk_i32 s12, 0x7fc
	v_fma_f16 v3, v3, 2.0, -v110
	v_fma_f16 v58, v58, 2.0, -v59
	ds_write2_b32 v107, v0, v1 offset1:2
	v_and_or_b32 v0, v109, s12, v84
	v_lshlrev_b32_e32 v108, 2, v0
	v_pack_b32_f16 v0, v3, v58
	v_pack_b32_f16 v1, v110, v59
	v_lshlrev_b32_e32 v85, 1, v39
	ds_write2_b32 v108, v0, v1 offset1:2
	s_and_saveexec_b64 s[12:13], s[0:1]
	s_cbranch_execz .LBB0_11
; %bb.10:
	s_movk_i32 s14, 0x4fc
	v_and_or_b32 v0, v85, s14, v84
	s_mov_b32 s14, 0x5040100
	v_lshlrev_b32_e32 v0, 2, v0
	v_perm_b32 v1, v21, v20, s14
	v_perm_b32 v2, v40, v41, s14
	ds_write2_b32 v0, v1, v2 offset1:2
.LBB0_11:
	s_or_b64 exec, exec, s[12:13]
	v_add_u32_e32 v0, 0x800, v61
	s_waitcnt lgkmcnt(0)
	; wave barrier
	s_waitcnt lgkmcnt(0)
	ds_read2_b32 v[8:9], v61 offset1:56
	ds_read2_b32 v[18:19], v0 offset0:76 offset1:132
	ds_read2_b32 v[6:7], v61 offset0:112 offset1:168
	;; [unrolled: 1-line block ×3, first 2 shown]
	v_add_u32_e32 v0, 0x200, v61
	ds_read2_b32 v[4:5], v0 offset0:96 offset1:152
	v_add_u32_e32 v0, 0xc00, v61
	v_add_u32_e32 v1, 0x400, v61
	ds_read2_b32 v[14:15], v0 offset0:44 offset1:100
	ds_read2_b32 v[2:3], v1 offset0:80 offset1:136
	;; [unrolled: 1-line block ×4, first 2 shown]
	v_add_u32_e32 v10, 0x1000, v61
	ds_read2_b32 v[10:11], v10 offset0:12 offset1:68
	s_and_saveexec_b64 s[12:13], s[0:1]
	s_cbranch_execz .LBB0_13
; %bb.12:
	ds_read_b32 v20, v61 offset:2240
	ds_read_b32 v41, v61 offset:4592
	s_waitcnt lgkmcnt(1)
	v_lshrrev_b32_e32 v21, 16, v20
	s_waitcnt lgkmcnt(0)
	v_lshrrev_b32_e32 v40, 16, v41
.LBB0_13:
	s_or_b64 exec, exec, s[12:13]
	v_and_b32_e32 v87, 3, v81
	v_lshlrev_b32_e32 v91, 2, v87
	global_load_dword v91, v91, s[4:5] offset:8
	s_waitcnt lgkmcnt(8)
	v_lshrrev_b32_e32 v42, 16, v18
	v_lshrrev_b32_e32 v44, 16, v19
	s_waitcnt lgkmcnt(6)
	v_lshrrev_b32_e32 v46, 16, v16
	v_lshrrev_b32_e32 v48, 16, v17
	;; [unrolled: 3-line block ×5, first 2 shown]
	v_lshrrev_b32_e32 v39, 16, v8
	s_movk_i32 s12, 0x78
	v_lshrrev_b32_e32 v43, 16, v9
	v_and_or_b32 v27, v27, s12, v87
	s_movk_i32 s12, 0xf8
	v_lshrrev_b32_e32 v45, 16, v6
	s_waitcnt lgkmcnt(0)
	; wave barrier
	v_lshrrev_b32_e32 v47, 16, v7
	v_lshrrev_b32_e32 v49, 16, v4
	;; [unrolled: 1-line block ×3, first 2 shown]
	s_movk_i32 s13, 0x2f8
	v_lshrrev_b32_e32 v53, 16, v2
	v_lshrrev_b32_e32 v55, 16, v3
	;; [unrolled: 1-line block ×4, first 2 shown]
	s_waitcnt vmcnt(0)
	v_mul_f16_sdwa v110, v42, v91 dst_sel:DWORD dst_unused:UNUSED_PAD src0_sel:DWORD src1_sel:WORD_1
	v_fma_f16 v110, v18, v91, -v110
	v_mul_f16_sdwa v18, v18, v91 dst_sel:DWORD dst_unused:UNUSED_PAD src0_sel:DWORD src1_sel:WORD_1
	v_fma_f16 v18, v42, v91, v18
	v_mul_f16_sdwa v42, v44, v91 dst_sel:DWORD dst_unused:UNUSED_PAD src0_sel:DWORD src1_sel:WORD_1
	v_fma_f16 v42, v19, v91, -v42
	v_mul_f16_sdwa v19, v19, v91 dst_sel:DWORD dst_unused:UNUSED_PAD src0_sel:DWORD src1_sel:WORD_1
	v_fma_f16 v19, v44, v91, v19
	v_mul_f16_sdwa v44, v46, v91 dst_sel:DWORD dst_unused:UNUSED_PAD src0_sel:DWORD src1_sel:WORD_1
	v_fma_f16 v44, v16, v91, -v44
	v_mul_f16_sdwa v16, v16, v91 dst_sel:DWORD dst_unused:UNUSED_PAD src0_sel:DWORD src1_sel:WORD_1
	v_fma_f16 v16, v46, v91, v16
	v_mul_f16_sdwa v46, v48, v91 dst_sel:DWORD dst_unused:UNUSED_PAD src0_sel:DWORD src1_sel:WORD_1
	v_fma_f16 v46, v17, v91, -v46
	v_mul_f16_sdwa v17, v17, v91 dst_sel:DWORD dst_unused:UNUSED_PAD src0_sel:DWORD src1_sel:WORD_1
	v_fma_f16 v17, v48, v91, v17
	v_mul_f16_sdwa v48, v50, v91 dst_sel:DWORD dst_unused:UNUSED_PAD src0_sel:DWORD src1_sel:WORD_1
	v_fma_f16 v48, v14, v91, -v48
	v_mul_f16_sdwa v14, v14, v91 dst_sel:DWORD dst_unused:UNUSED_PAD src0_sel:DWORD src1_sel:WORD_1
	v_fma_f16 v14, v50, v91, v14
	v_mul_f16_sdwa v50, v52, v91 dst_sel:DWORD dst_unused:UNUSED_PAD src0_sel:DWORD src1_sel:WORD_1
	v_fma_f16 v50, v15, v91, -v50
	v_mul_f16_sdwa v15, v15, v91 dst_sel:DWORD dst_unused:UNUSED_PAD src0_sel:DWORD src1_sel:WORD_1
	v_fma_f16 v15, v52, v91, v15
	v_mul_f16_sdwa v52, v54, v91 dst_sel:DWORD dst_unused:UNUSED_PAD src0_sel:DWORD src1_sel:WORD_1
	v_fma_f16 v52, v12, v91, -v52
	v_mul_f16_sdwa v12, v12, v91 dst_sel:DWORD dst_unused:UNUSED_PAD src0_sel:DWORD src1_sel:WORD_1
	v_fma_f16 v12, v54, v91, v12
	v_mul_f16_sdwa v54, v56, v91 dst_sel:DWORD dst_unused:UNUSED_PAD src0_sel:DWORD src1_sel:WORD_1
	v_fma_f16 v54, v13, v91, -v54
	v_mul_f16_sdwa v13, v13, v91 dst_sel:DWORD dst_unused:UNUSED_PAD src0_sel:DWORD src1_sel:WORD_1
	v_fma_f16 v13, v56, v91, v13
	v_mul_f16_sdwa v56, v58, v91 dst_sel:DWORD dst_unused:UNUSED_PAD src0_sel:DWORD src1_sel:WORD_1
	v_fma_f16 v56, v10, v91, -v56
	v_mul_f16_sdwa v10, v10, v91 dst_sel:DWORD dst_unused:UNUSED_PAD src0_sel:DWORD src1_sel:WORD_1
	v_fma_f16 v10, v58, v91, v10
	v_mul_f16_sdwa v58, v60, v91 dst_sel:DWORD dst_unused:UNUSED_PAD src0_sel:DWORD src1_sel:WORD_1
	v_fma_f16 v58, v11, v91, -v58
	v_mul_f16_sdwa v11, v11, v91 dst_sel:DWORD dst_unused:UNUSED_PAD src0_sel:DWORD src1_sel:WORD_1
	v_fma_f16 v11, v60, v91, v11
	v_mul_f16_sdwa v60, v40, v91 dst_sel:DWORD dst_unused:UNUSED_PAD src0_sel:DWORD src1_sel:WORD_1
	v_fma_f16 v60, v41, v91, -v60
	v_mul_f16_sdwa v41, v41, v91 dst_sel:DWORD dst_unused:UNUSED_PAD src0_sel:DWORD src1_sel:WORD_1
	v_fma_f16 v40, v40, v91, v41
	v_sub_f16_e32 v41, v8, v110
	v_sub_f16_e32 v18, v39, v18
	v_fma_f16 v8, v8, 2.0, -v41
	v_fma_f16 v39, v39, 2.0, -v18
	v_sub_f16_e32 v42, v9, v42
	v_sub_f16_e32 v19, v43, v19
	v_lshlrev_b32_e32 v110, 2, v27
	v_pack_b32_f16 v8, v8, v39
	v_pack_b32_f16 v18, v41, v18
	v_fma_f16 v9, v9, 2.0, -v42
	v_fma_f16 v43, v43, 2.0, -v19
	ds_write2_b32 v110, v8, v18 offset1:4
	v_and_or_b32 v8, v28, s12, v87
	v_sub_f16_e32 v44, v6, v44
	v_sub_f16_e32 v16, v45, v16
	v_lshlrev_b32_e32 v111, 2, v8
	v_pack_b32_f16 v8, v9, v43
	v_pack_b32_f16 v9, v42, v19
	s_movk_i32 s12, 0x1f8
	v_fma_f16 v6, v6, 2.0, -v44
	v_fma_f16 v45, v45, 2.0, -v16
	ds_write2_b32 v111, v8, v9 offset1:4
	v_and_or_b32 v8, v33, s12, v87
	v_sub_f16_e32 v46, v7, v46
	v_sub_f16_e32 v17, v47, v17
	v_lshlrev_b32_e32 v112, 2, v8
	v_pack_b32_f16 v6, v6, v45
	v_pack_b32_f16 v8, v44, v16
	v_fma_f16 v7, v7, 2.0, -v46
	v_fma_f16 v47, v47, 2.0, -v17
	ds_write2_b32 v112, v6, v8 offset1:4
	v_and_or_b32 v6, v34, s12, v87
	v_sub_f16_e32 v48, v4, v48
	v_sub_f16_e32 v14, v49, v14
	v_lshlrev_b32_e32 v113, 2, v6
	v_pack_b32_f16 v6, v7, v47
	v_pack_b32_f16 v7, v46, v17
	s_movk_i32 s12, 0x3f8
	v_fma_f16 v4, v4, 2.0, -v48
	v_fma_f16 v49, v49, 2.0, -v14
	ds_write2_b32 v113, v6, v7 offset1:4
	v_and_or_b32 v6, v35, s12, v87
	v_sub_f16_e32 v50, v5, v50
	v_sub_f16_e32 v15, v51, v15
	v_lshlrev_b32_e32 v114, 2, v6
	v_pack_b32_f16 v4, v4, v49
	v_pack_b32_f16 v6, v48, v14
	v_fma_f16 v5, v5, 2.0, -v50
	v_fma_f16 v51, v51, 2.0, -v15
	ds_write2_b32 v114, v4, v6 offset1:4
	v_and_or_b32 v4, v36, s13, v87
	v_sub_f16_e32 v52, v2, v52
	v_sub_f16_e32 v12, v53, v12
	v_lshlrev_b32_e32 v115, 2, v4
	v_pack_b32_f16 v4, v5, v51
	v_pack_b32_f16 v5, v50, v15
	;; [unrolled: 9-line block ×5, first 2 shown]
	s_movk_i32 s12, 0x7f8
	v_fma_f16 v1, v1, 2.0, -v58
	v_fma_f16 v59, v59, 2.0, -v11
	ds_write2_b32 v118, v0, v2 offset1:4
	v_and_or_b32 v0, v109, s12, v87
	v_sub_f16_e32 v130, v20, v60
	v_sub_f16_e32 v131, v21, v40
	v_lshlrev_b32_e32 v119, 2, v0
	v_pack_b32_f16 v0, v1, v59
	v_pack_b32_f16 v1, v58, v11
	ds_write2_b32 v119, v0, v1 offset1:4
	s_and_saveexec_b64 s[12:13], s[0:1]
	s_cbranch_execz .LBB0_15
; %bb.14:
	s_movk_i32 s14, 0x4f8
	v_fma_f16 v0, v20, 2.0, -v130
	v_fma_f16 v1, v21, 2.0, -v131
	v_and_or_b32 v2, v85, s14, v87
	s_mov_b32 s14, 0x5040100
	v_lshlrev_b32_e32 v2, 2, v2
	v_pack_b32_f16 v0, v0, v1
	v_perm_b32 v1, v131, v130, s14
	ds_write2_b32 v2, v0, v1 offset1:4
.LBB0_15:
	s_or_b64 exec, exec, s[12:13]
	v_and_b32_e32 v20, 7, v81
	v_lshlrev_b32_e32 v0, 3, v20
	s_waitcnt lgkmcnt(0)
	; wave barrier
	s_waitcnt lgkmcnt(0)
	global_load_dwordx2 v[27:28], v0, s[4:5] offset:24
	ds_read2_b32 v[0:1], v61 offset1:56
	v_add_u32_e32 v59, 0x400, v61
	v_add_u32_e32 v57, 0xc00, v61
	ds_read2_b32 v[2:3], v61 offset0:112 offset1:168
	v_add_u32_e32 v44, 0x800, v61
	v_add_u32_e32 v43, 0x200, v61
	;; [unrolled: 1-line block ×3, first 2 shown]
	ds_read_b32 v21, v61 offset:4480
	ds_read2_b32 v[4:5], v59 offset0:80 offset1:136
	ds_read2_b32 v[6:7], v57 offset0:16 offset1:72
	;; [unrolled: 1-line block ×8, first 2 shown]
	s_waitcnt lgkmcnt(7)
	v_lshrrev_b32_e32 v38, 16, v5
	s_waitcnt lgkmcnt(6)
	v_lshrrev_b32_e32 v39, 16, v6
	v_lshrrev_b32_e32 v37, 16, v21
	s_waitcnt lgkmcnt(1)
	v_lshrrev_b32_e32 v54, 16, v17
	s_waitcnt lgkmcnt(0)
	v_lshrrev_b32_e32 v53, 16, v18
	v_lshrrev_b32_e32 v56, 16, v19
	;; [unrolled: 1-line block ×5, first 2 shown]
	s_movk_i32 s12, 0x3aee
	s_mov_b32 s13, 0xbaee
	v_lshrrev_b32_e32 v42, 16, v9
	v_lshrrev_b32_e32 v46, 16, v10
	;; [unrolled: 1-line block ×12, first 2 shown]
	s_waitcnt lgkmcnt(0)
	; wave barrier
	s_movk_i32 s14, 0xab
	s_movk_i32 s15, 0x39e0
	s_mov_b32 s17, 0xb9e0
	s_movk_i32 s18, 0x3574
	s_mov_b32 s19, 0xb574
	s_movk_i32 s16, 0x370e
	s_waitcnt vmcnt(0)
	v_mul_f16_sdwa v58, v38, v27 dst_sel:DWORD dst_unused:UNUSED_PAD src0_sel:DWORD src1_sel:WORD_1
	v_mul_f16_sdwa v140, v53, v27 dst_sel:DWORD dst_unused:UNUSED_PAD src0_sel:DWORD src1_sel:WORD_1
	;; [unrolled: 1-line block ×3, first 2 shown]
	v_fma_f16 v5, v5, v27, -v58
	v_fma_f16 v58, v18, v27, -v140
	v_mul_f16_sdwa v18, v18, v27 dst_sel:DWORD dst_unused:UNUSED_PAD src0_sel:DWORD src1_sel:WORD_1
	v_fma_f16 v18, v53, v27, v18
	v_mul_f16_sdwa v53, v54, v28 dst_sel:DWORD dst_unused:UNUSED_PAD src0_sel:DWORD src1_sel:WORD_1
	v_fma_f16 v53, v17, v28, -v53
	v_mul_f16_sdwa v17, v17, v28 dst_sel:DWORD dst_unused:UNUSED_PAD src0_sel:DWORD src1_sel:WORD_1
	v_fma_f16 v17, v54, v28, v17
	v_mul_f16_sdwa v54, v56, v27 dst_sel:DWORD dst_unused:UNUSED_PAD src0_sel:DWORD src1_sel:WORD_1
	v_mul_f16_sdwa v120, v39, v28 dst_sel:DWORD dst_unused:UNUSED_PAD src0_sel:DWORD src1_sel:WORD_1
	v_fma_f16 v54, v19, v27, -v54
	v_mul_f16_sdwa v19, v19, v27 dst_sel:DWORD dst_unused:UNUSED_PAD src0_sel:DWORD src1_sel:WORD_1
	v_mul_f16_sdwa v121, v6, v28 dst_sel:DWORD dst_unused:UNUSED_PAD src0_sel:DWORD src1_sel:WORD_1
	v_fma_f16 v6, v6, v28, -v120
	v_fma_f16 v19, v56, v27, v19
	v_mul_f16_sdwa v56, v37, v28 dst_sel:DWORD dst_unused:UNUSED_PAD src0_sel:DWORD src1_sel:WORD_1
	v_fma_f16 v38, v38, v27, v60
	v_fma_f16 v39, v39, v28, v121
	v_fma_f16 v56, v21, v28, -v56
	v_mul_f16_sdwa v21, v21, v28 dst_sel:DWORD dst_unused:UNUSED_PAD src0_sel:DWORD src1_sel:WORD_1
	v_add_f16_e32 v60, v5, v6
	v_mul_f16_sdwa v122, v40, v27 dst_sel:DWORD dst_unused:UNUSED_PAD src0_sel:DWORD src1_sel:WORD_1
	v_mul_f16_sdwa v124, v41, v28 dst_sel:DWORD dst_unused:UNUSED_PAD src0_sel:DWORD src1_sel:WORD_1
	v_fma_f16 v21, v37, v28, v21
	v_add_f16_e32 v37, v0, v5
	v_fma_f16 v0, v60, -0.5, v0
	v_sub_f16_e32 v60, v38, v39
	v_mul_f16_sdwa v123, v8, v27 dst_sel:DWORD dst_unused:UNUSED_PAD src0_sel:DWORD src1_sel:WORD_1
	v_mul_f16_sdwa v125, v7, v28 dst_sel:DWORD dst_unused:UNUSED_PAD src0_sel:DWORD src1_sel:WORD_1
	v_fma_f16 v8, v8, v27, -v122
	v_fma_f16 v7, v7, v28, -v124
	v_fma_f16 v121, v60, s12, v0
	v_fma_f16 v0, v60, s13, v0
	v_add_f16_e32 v60, v33, v38
	v_add_f16_e32 v38, v38, v39
	v_fma_f16 v40, v40, v27, v123
	v_fma_f16 v41, v41, v28, v125
	v_fma_f16 v33, v38, -0.5, v33
	v_sub_f16_e32 v5, v5, v6
	v_add_f16_e32 v38, v8, v7
	v_mul_f16_sdwa v126, v42, v27 dst_sel:DWORD dst_unused:UNUSED_PAD src0_sel:DWORD src1_sel:WORD_1
	v_mul_f16_sdwa v128, v46, v28 dst_sel:DWORD dst_unused:UNUSED_PAD src0_sel:DWORD src1_sel:WORD_1
	v_add_f16_e32 v37, v37, v6
	v_fma_f16 v6, v5, s13, v33
	v_fma_f16 v5, v5, s12, v33
	v_add_f16_e32 v33, v1, v8
	v_fma_f16 v1, v38, -0.5, v1
	v_sub_f16_e32 v38, v40, v41
	v_mul_f16_sdwa v127, v9, v27 dst_sel:DWORD dst_unused:UNUSED_PAD src0_sel:DWORD src1_sel:WORD_1
	v_mul_f16_sdwa v129, v10, v28 dst_sel:DWORD dst_unused:UNUSED_PAD src0_sel:DWORD src1_sel:WORD_1
	v_fma_f16 v9, v9, v27, -v126
	v_fma_f16 v10, v10, v28, -v128
	v_add_f16_e32 v60, v60, v39
	v_fma_f16 v39, v38, s12, v1
	v_fma_f16 v1, v38, s13, v1
	v_add_f16_e32 v38, v34, v40
	v_add_f16_e32 v40, v40, v41
	v_fma_f16 v42, v42, v27, v127
	v_fma_f16 v46, v46, v28, v129
	v_add_f16_e32 v33, v33, v7
	v_fma_f16 v34, v40, -0.5, v34
	v_sub_f16_e32 v7, v8, v7
	v_add_f16_e32 v40, v9, v10
	v_mul_f16_sdwa v132, v47, v27 dst_sel:DWORD dst_unused:UNUSED_PAD src0_sel:DWORD src1_sel:WORD_1
	v_mul_f16_sdwa v134, v48, v28 dst_sel:DWORD dst_unused:UNUSED_PAD src0_sel:DWORD src1_sel:WORD_1
	v_fma_f16 v8, v7, s13, v34
	v_fma_f16 v7, v7, s12, v34
	v_add_f16_e32 v34, v2, v9
	v_fma_f16 v2, v40, -0.5, v2
	v_sub_f16_e32 v40, v42, v46
	v_mul_f16_sdwa v133, v12, v27 dst_sel:DWORD dst_unused:UNUSED_PAD src0_sel:DWORD src1_sel:WORD_1
	v_mul_f16_sdwa v135, v11, v28 dst_sel:DWORD dst_unused:UNUSED_PAD src0_sel:DWORD src1_sel:WORD_1
	v_fma_f16 v12, v12, v27, -v132
	v_fma_f16 v11, v11, v28, -v134
	v_add_f16_e32 v38, v38, v41
	v_fma_f16 v41, v40, s12, v2
	v_fma_f16 v2, v40, s13, v2
	v_add_f16_e32 v40, v35, v42
	v_add_f16_e32 v42, v42, v46
	v_fma_f16 v47, v47, v27, v133
	v_fma_f16 v48, v48, v28, v135
	v_fma_f16 v35, v42, -0.5, v35
	v_sub_f16_e32 v9, v9, v10
	v_add_f16_e32 v42, v12, v11
	v_mul_f16_sdwa v136, v50, v27 dst_sel:DWORD dst_unused:UNUSED_PAD src0_sel:DWORD src1_sel:WORD_1
	v_mul_f16_sdwa v138, v51, v28 dst_sel:DWORD dst_unused:UNUSED_PAD src0_sel:DWORD src1_sel:WORD_1
	v_add_f16_e32 v34, v34, v10
	v_fma_f16 v10, v9, s13, v35
	v_fma_f16 v9, v9, s12, v35
	v_add_f16_e32 v35, v3, v12
	v_fma_f16 v3, v42, -0.5, v3
	v_sub_f16_e32 v42, v47, v48
	v_mul_f16_sdwa v137, v13, v27 dst_sel:DWORD dst_unused:UNUSED_PAD src0_sel:DWORD src1_sel:WORD_1
	v_mul_f16_sdwa v139, v16, v28 dst_sel:DWORD dst_unused:UNUSED_PAD src0_sel:DWORD src1_sel:WORD_1
	v_fma_f16 v13, v13, v27, -v136
	v_fma_f16 v16, v16, v28, -v138
	v_add_f16_e32 v40, v40, v46
	v_fma_f16 v46, v42, s12, v3
	v_fma_f16 v3, v42, s13, v3
	v_add_f16_e32 v42, v36, v47
	v_add_f16_e32 v47, v47, v48
	v_fma_f16 v50, v50, v27, v137
	v_fma_f16 v51, v51, v28, v139
	v_add_f16_e32 v35, v35, v11
	v_fma_f16 v36, v47, -0.5, v36
	v_sub_f16_e32 v11, v12, v11
	v_add_f16_e32 v47, v13, v16
	v_fma_f16 v12, v11, s13, v36
	v_fma_f16 v11, v11, s12, v36
	v_add_f16_e32 v36, v14, v13
	v_fma_f16 v14, v47, -0.5, v14
	v_sub_f16_e32 v47, v50, v51
	v_add_f16_e32 v42, v42, v48
	v_fma_f16 v48, v47, s12, v14
	v_fma_f16 v14, v47, s13, v14
	v_add_f16_e32 v47, v49, v50
	v_add_f16_e32 v50, v50, v51
	v_fma_f16 v49, v50, -0.5, v49
	v_sub_f16_e32 v13, v13, v16
	v_add_f16_e32 v50, v58, v53
	v_add_f16_e32 v36, v36, v16
	v_fma_f16 v16, v13, s13, v49
	v_fma_f16 v13, v13, s12, v49
	v_add_f16_e32 v49, v15, v58
	v_fma_f16 v15, v50, -0.5, v15
	v_sub_f16_e32 v50, v18, v17
	v_add_f16_e32 v47, v47, v51
	v_fma_f16 v51, v50, s12, v15
	v_fma_f16 v15, v50, s13, v15
	v_add_f16_e32 v50, v52, v18
	v_add_f16_e32 v50, v50, v17
	;; [unrolled: 1-line block ×4, first 2 shown]
	v_fma_f16 v17, v17, -0.5, v52
	v_sub_f16_e32 v18, v58, v53
	v_add_f16_e32 v53, v54, v56
	v_fma_f16 v52, v18, s13, v17
	v_fma_f16 v17, v18, s12, v17
	v_add_f16_e32 v18, v4, v54
	v_fma_f16 v4, v53, -0.5, v4
	v_sub_f16_e32 v53, v19, v21
	v_fma_f16 v58, v53, s12, v4
	v_fma_f16 v4, v53, s13, v4
	v_add_f16_e32 v53, v55, v19
	v_add_f16_e32 v19, v19, v21
	;; [unrolled: 1-line block ×3, first 2 shown]
	v_fma_f16 v19, v19, -0.5, v55
	v_sub_f16_e32 v21, v54, v56
	v_fma_f16 v54, v21, s13, v19
	v_fma_f16 v19, v21, s12, v19
	v_lshrrev_b32_e32 v21, 3, v81
	v_mul_u32_u24_e32 v21, 24, v21
	v_or_b32_e32 v21, v21, v20
	v_lshlrev_b32_e32 v120, 2, v21
	v_pack_b32_f16 v0, v0, v5
	ds_write_b32 v120, v0 offset:64
	v_lshrrev_b32_e32 v0, 3, v23
	v_mul_u32_u24_e32 v0, 24, v0
	v_or_b32_e32 v0, v0, v20
	v_pack_b32_f16 v21, v37, v60
	v_pack_b32_f16 v6, v121, v6
	v_lshlrev_b32_e32 v121, 2, v0
	v_pack_b32_f16 v0, v33, v38
	v_pack_b32_f16 v5, v39, v8
	ds_write2_b32 v120, v21, v6 offset1:8
	ds_write2_b32 v121, v0, v5 offset1:8
	v_pack_b32_f16 v0, v1, v7
	ds_write_b32 v121, v0 offset:64
	v_lshrrev_b32_e32 v0, 3, v22
	v_mul_u32_u24_e32 v0, 24, v0
	v_or_b32_e32 v0, v0, v20
	v_lshlrev_b32_e32 v122, 2, v0
	v_pack_b32_f16 v0, v34, v40
	v_pack_b32_f16 v1, v41, v10
	ds_write2_b32 v122, v0, v1 offset1:8
	v_pack_b32_f16 v0, v2, v9
	ds_write_b32 v122, v0 offset:64
	v_lshrrev_b32_e32 v0, 3, v32
	v_mul_u32_u24_e32 v0, 24, v0
	v_or_b32_e32 v0, v0, v20
	v_lshlrev_b32_e32 v123, 2, v0
	v_pack_b32_f16 v0, v35, v42
	v_pack_b32_f16 v1, v46, v12
	;; [unrolled: 9-line block ×4, first 2 shown]
	ds_write2_b32 v125, v0, v1 offset1:8
	v_pack_b32_f16 v0, v15, v17
	ds_write_b32 v125, v0 offset:64
	v_lshrrev_b32_e32 v0, 3, v29
	v_mul_u32_u24_e32 v0, 24, v0
	v_add_f16_e32 v18, v18, v56
	v_or_b32_e32 v0, v0, v20
	v_lshlrev_b32_e32 v126, 2, v0
	v_pack_b32_f16 v0, v18, v53
	v_pack_b32_f16 v1, v58, v54
	ds_write2_b32 v126, v0, v1 offset1:8
	v_mul_lo_u16_sdwa v1, v81, s14 dst_sel:DWORD dst_unused:UNUSED_PAD src0_sel:BYTE_0 src1_sel:DWORD
	v_lshrrev_b16_e32 v46, 12, v1
	v_mul_lo_u16_e32 v1, 24, v46
	v_sub_u16_e32 v1, v81, v1
	v_and_b32_e32 v47, 0xff, v1
	v_pack_b32_f16 v0, v4, v19
	v_mad_u64_u32 v[4:5], s[12:13], v47, 24, s[4:5]
	ds_write_b32 v126, v0 offset:64
	s_waitcnt lgkmcnt(0)
	; wave barrier
	s_waitcnt lgkmcnt(0)
	global_load_dwordx4 v[0:3], v[4:5], off offset:88
	global_load_dwordx2 v[29:30], v[4:5], off offset:104
	v_mul_lo_u16_sdwa v4, v23, s14 dst_sel:DWORD dst_unused:UNUSED_PAD src0_sel:BYTE_0 src1_sel:DWORD
	v_lshrrev_b16_e32 v48, 12, v4
	v_mul_lo_u16_e32 v4, 24, v48
	v_sub_u16_e32 v4, v23, v4
	v_and_b32_e32 v49, 0xff, v4
	v_mad_u64_u32 v[8:9], s[12:13], v49, 24, s[4:5]
	global_load_dwordx4 v[4:7], v[8:9], off offset:88
	global_load_dwordx2 v[31:32], v[8:9], off offset:104
	v_mul_lo_u16_sdwa v8, v22, s14 dst_sel:DWORD dst_unused:UNUSED_PAD src0_sel:BYTE_0 src1_sel:DWORD
	v_lshrrev_b16_e32 v50, 12, v8
	v_mul_lo_u16_e32 v8, 24, v50
	v_sub_u16_e32 v8, v22, v8
	v_and_b32_e32 v51, 0xff, v8
	v_mad_u64_u32 v[12:13], s[12:13], v51, 24, s[4:5]
	s_movk_i32 s13, 0x2b26
	s_movk_i32 s12, 0x3b00
	global_load_dwordx4 v[8:11], v[12:13], off offset:88
	ds_read2_b32 v[14:15], v61 offset0:112 offset1:168
	ds_read2_b32 v[16:17], v61 offset1:56
	ds_read2_b32 v[18:19], v59 offset0:80 offset1:136
	ds_read2_b32 v[20:21], v59 offset0:192 offset1:248
	ds_read2_b32 v[22:23], v44 offset0:160 offset1:216
	ds_read2_b32 v[35:36], v57 offset0:16 offset1:72
	ds_read2_b32 v[37:38], v45 offset0:112 offset1:168
	ds_read2_b32 v[39:40], v43 offset0:96 offset1:152
	ds_read2_b32 v[41:42], v44 offset0:48 offset1:104
	global_load_dwordx2 v[33:34], v[12:13], off offset:104
	s_waitcnt lgkmcnt(8)
	v_lshrrev_b32_e32 v52, 16, v15
	s_waitcnt lgkmcnt(6)
	v_lshrrev_b32_e32 v53, 16, v18
	;; [unrolled: 2-line block ×7, first 2 shown]
	v_lshrrev_b32_e32 v127, 16, v19
	ds_read2_b32 v[12:13], v57 offset0:128 offset1:184
	s_waitcnt lgkmcnt(1)
	v_lshrrev_b32_e32 v128, 16, v41
	v_lshrrev_b32_e32 v129, 16, v23
	;; [unrolled: 1-line block ×4, first 2 shown]
	s_waitcnt lgkmcnt(0)
	v_lshrrev_b32_e32 v132, 16, v12
	v_lshrrev_b32_e32 v136, 16, v20
	;; [unrolled: 1-line block ×3, first 2 shown]
	ds_read_b32 v135, v61 offset:4480
	v_lshrrev_b32_e32 v138, 16, v35
	v_lshrrev_b32_e32 v139, 16, v13
	s_mov_b32 s14, 0xbcab
	v_mul_u32_u24_e32 v46, 0xa8, v46
	s_waitcnt lgkmcnt(0)
	v_lshrrev_b32_e32 v140, 16, v135
	s_waitcnt lgkmcnt(0)
	; wave barrier
	s_waitcnt vmcnt(5)
	v_mul_f16_sdwa v141, v52, v0 dst_sel:DWORD dst_unused:UNUSED_PAD src0_sel:DWORD src1_sel:WORD_1
	v_fma_f16 v141, v15, v0, -v141
	v_mul_f16_sdwa v15, v15, v0 dst_sel:DWORD dst_unused:UNUSED_PAD src0_sel:DWORD src1_sel:WORD_1
	v_fma_f16 v15, v52, v0, v15
	v_mul_f16_sdwa v52, v53, v1 dst_sel:DWORD dst_unused:UNUSED_PAD src0_sel:DWORD src1_sel:WORD_1
	v_fma_f16 v52, v18, v1, -v52
	v_mul_f16_sdwa v18, v18, v1 dst_sel:DWORD dst_unused:UNUSED_PAD src0_sel:DWORD src1_sel:WORD_1
	v_fma_f16 v18, v53, v1, v18
	v_mul_f16_sdwa v53, v54, v2 dst_sel:DWORD dst_unused:UNUSED_PAD src0_sel:DWORD src1_sel:WORD_1
	v_fma_f16 v53, v21, v2, -v53
	v_mul_f16_sdwa v21, v21, v2 dst_sel:DWORD dst_unused:UNUSED_PAD src0_sel:DWORD src1_sel:WORD_1
	v_fma_f16 v21, v54, v2, v21
	v_mul_f16_sdwa v54, v55, v3 dst_sel:DWORD dst_unused:UNUSED_PAD src0_sel:DWORD src1_sel:WORD_1
	v_fma_f16 v54, v22, v3, -v54
	v_mul_f16_sdwa v22, v22, v3 dst_sel:DWORD dst_unused:UNUSED_PAD src0_sel:DWORD src1_sel:WORD_1
	v_fma_f16 v22, v55, v3, v22
	s_waitcnt vmcnt(4)
	v_mul_f16_sdwa v55, v56, v29 dst_sel:DWORD dst_unused:UNUSED_PAD src0_sel:DWORD src1_sel:WORD_1
	v_fma_f16 v55, v36, v29, -v55
	v_mul_f16_sdwa v36, v36, v29 dst_sel:DWORD dst_unused:UNUSED_PAD src0_sel:DWORD src1_sel:WORD_1
	v_fma_f16 v36, v56, v29, v36
	v_mul_f16_sdwa v56, v58, v30 dst_sel:DWORD dst_unused:UNUSED_PAD src0_sel:DWORD src1_sel:WORD_1
	v_fma_f16 v56, v37, v30, -v56
	v_mul_f16_sdwa v37, v37, v30 dst_sel:DWORD dst_unused:UNUSED_PAD src0_sel:DWORD src1_sel:WORD_1
	v_fma_f16 v37, v58, v30, v37
	s_waitcnt vmcnt(3)
	v_mul_f16_sdwa v58, v60, v4 dst_sel:DWORD dst_unused:UNUSED_PAD src0_sel:DWORD src1_sel:WORD_1
	v_fma_f16 v58, v39, v4, -v58
	v_mul_f16_sdwa v39, v39, v4 dst_sel:DWORD dst_unused:UNUSED_PAD src0_sel:DWORD src1_sel:WORD_1
	v_fma_f16 v39, v60, v4, v39
	v_mul_f16_sdwa v60, v127, v5 dst_sel:DWORD dst_unused:UNUSED_PAD src0_sel:DWORD src1_sel:WORD_1
	v_fma_f16 v60, v19, v5, -v60
	v_mul_f16_sdwa v19, v19, v5 dst_sel:DWORD dst_unused:UNUSED_PAD src0_sel:DWORD src1_sel:WORD_1
	v_fma_f16 v19, v127, v5, v19
	v_mul_f16_sdwa v127, v128, v6 dst_sel:DWORD dst_unused:UNUSED_PAD src0_sel:DWORD src1_sel:WORD_1
	v_fma_f16 v127, v41, v6, -v127
	v_mul_f16_sdwa v41, v41, v6 dst_sel:DWORD dst_unused:UNUSED_PAD src0_sel:DWORD src1_sel:WORD_1
	v_fma_f16 v41, v128, v6, v41
	v_mul_f16_sdwa v128, v129, v7 dst_sel:DWORD dst_unused:UNUSED_PAD src0_sel:DWORD src1_sel:WORD_1
	v_fma_f16 v128, v23, v7, -v128
	v_mul_f16_sdwa v23, v23, v7 dst_sel:DWORD dst_unused:UNUSED_PAD src0_sel:DWORD src1_sel:WORD_1
	v_fma_f16 v23, v129, v7, v23
	s_waitcnt vmcnt(2)
	v_mul_f16_sdwa v129, v132, v31 dst_sel:DWORD dst_unused:UNUSED_PAD src0_sel:DWORD src1_sel:WORD_1
	v_fma_f16 v129, v12, v31, -v129
	v_mul_f16_sdwa v12, v12, v31 dst_sel:DWORD dst_unused:UNUSED_PAD src0_sel:DWORD src1_sel:WORD_1
	v_fma_f16 v12, v132, v31, v12
	v_mul_f16_sdwa v132, v133, v32 dst_sel:DWORD dst_unused:UNUSED_PAD src0_sel:DWORD src1_sel:WORD_1
	v_fma_f16 v132, v38, v32, -v132
	v_mul_f16_sdwa v38, v38, v32 dst_sel:DWORD dst_unused:UNUSED_PAD src0_sel:DWORD src1_sel:WORD_1
	v_fma_f16 v38, v133, v32, v38
	;; [unrolled: 26-line block ×3, first 2 shown]
	v_add_f16_e32 v140, v141, v56
	v_add_f16_e32 v142, v15, v37
	v_sub_f16_e32 v56, v141, v56
	v_sub_f16_e32 v15, v15, v37
	v_add_f16_e32 v37, v52, v55
	v_add_f16_e32 v141, v18, v36
	v_sub_f16_e32 v52, v52, v55
	v_sub_f16_e32 v18, v18, v36
	;; [unrolled: 4-line block ×4, first 2 shown]
	v_sub_f16_e32 v140, v140, v36
	v_sub_f16_e32 v142, v142, v55
	;; [unrolled: 1-line block ×4, first 2 shown]
	v_add_f16_e32 v145, v53, v52
	v_add_f16_e32 v146, v21, v18
	v_sub_f16_e32 v147, v53, v52
	v_sub_f16_e32 v148, v21, v18
	;; [unrolled: 1-line block ×4, first 2 shown]
	v_add_f16_e32 v22, v36, v22
	v_add_f16_e32 v36, v55, v54
	v_sub_f16_e32 v53, v56, v53
	v_sub_f16_e32 v21, v15, v21
	v_add_f16_e32 v54, v145, v56
	v_add_f16_e32 v15, v146, v15
	;; [unrolled: 1-line block ×3, first 2 shown]
	v_add_f16_sdwa v16, v16, v36 dst_sel:DWORD dst_unused:UNUSED_PAD src0_sel:WORD_1 src1_sel:DWORD
	v_mul_f16_e32 v56, 0x3a52, v140
	v_mul_f16_e32 v140, 0x3a52, v142
	;; [unrolled: 1-line block ×8, first 2 shown]
	v_fma_f16 v22, v22, s14, v55
	v_fma_f16 v36, v36, s14, v16
	;; [unrolled: 1-line block ×4, first 2 shown]
	v_fma_f16 v142, v143, s15, -v142
	v_fma_f16 v145, v144, s15, -v145
	;; [unrolled: 1-line block ×4, first 2 shown]
	v_fma_f16 v143, v53, s18, v146
	v_fma_f16 v144, v21, s18, v147
	v_fma_f16 v18, v18, s12, -v147
	v_fma_f16 v53, v53, s19, -v148
	;; [unrolled: 1-line block ×4, first 2 shown]
	v_add_f16_e32 v37, v37, v22
	v_add_f16_e32 v141, v141, v36
	;; [unrolled: 1-line block ×6, first 2 shown]
	v_fma_f16 v56, v54, s16, v143
	v_fma_f16 v140, v15, s16, v144
	;; [unrolled: 1-line block ×6, first 2 shown]
	v_add_f16_e32 v21, v140, v37
	v_sub_f16_e32 v54, v141, v56
	v_add_f16_e32 v143, v15, v22
	v_sub_f16_e32 v144, v36, v53
	v_sub_f16_e32 v15, v22, v15
	v_add_f16_e32 v22, v53, v36
	v_sub_f16_e32 v36, v37, v140
	v_add_f16_e32 v37, v56, v141
	v_add_f16_e32 v53, v58, v132
	;; [unrolled: 1-line block ×3, first 2 shown]
	v_sub_f16_e32 v58, v58, v132
	v_sub_f16_e32 v38, v39, v38
	v_add_f16_e32 v39, v60, v129
	v_add_f16_e32 v132, v19, v12
	v_sub_f16_e32 v60, v60, v129
	v_sub_f16_e32 v12, v19, v12
	v_add_f16_e32 v19, v127, v128
	v_add_f16_e32 v129, v41, v23
	;; [unrolled: 4-line block ×3, first 2 shown]
	v_sub_f16_e32 v146, v142, v18
	v_add_f16_e32 v147, v52, v145
	v_add_f16_e32 v18, v18, v142
	v_sub_f16_e32 v52, v145, v52
	v_sub_f16_e32 v140, v39, v53
	;; [unrolled: 1-line block ×7, first 2 shown]
	v_add_f16_e32 v142, v127, v60
	v_add_f16_e32 v145, v23, v12
	v_sub_f16_e32 v148, v127, v60
	v_sub_f16_e32 v149, v23, v12
	;; [unrolled: 1-line block ×4, first 2 shown]
	v_add_f16_e32 v19, v19, v41
	v_add_f16_e32 v41, v129, v128
	v_sub_f16_e32 v127, v58, v127
	v_sub_f16_e32 v23, v38, v23
	v_add_f16_e32 v58, v142, v58
	v_add_f16_e32 v38, v145, v38
	v_add_f16_e32 v129, v17, v19
	v_add_f16_sdwa v17, v17, v41 dst_sel:DWORD dst_unused:UNUSED_PAD src0_sel:WORD_1 src1_sel:DWORD
	v_mul_f16_e32 v53, 0x3a52, v53
	v_mul_f16_e32 v56, 0x3a52, v56
	;; [unrolled: 1-line block ×8, first 2 shown]
	v_fma_f16 v19, v19, s14, v129
	v_fma_f16 v41, v41, s14, v17
	;; [unrolled: 1-line block ×4, first 2 shown]
	v_fma_f16 v128, v140, s15, -v128
	v_fma_f16 v142, v141, s15, -v142
	;; [unrolled: 1-line block ×4, first 2 shown]
	v_fma_f16 v140, v127, s18, v145
	v_fma_f16 v141, v23, s18, v148
	v_fma_f16 v60, v60, s12, -v145
	v_fma_f16 v12, v12, s12, -v148
	;; [unrolled: 1-line block ×4, first 2 shown]
	v_add_f16_e32 v39, v39, v19
	v_add_f16_e32 v132, v132, v41
	;; [unrolled: 1-line block ×6, first 2 shown]
	v_fma_f16 v53, v58, s16, v140
	v_fma_f16 v56, v38, s16, v141
	;; [unrolled: 1-line block ×6, first 2 shown]
	v_add_f16_e32 v38, v56, v39
	v_sub_f16_e32 v140, v132, v53
	v_add_f16_e32 v141, v23, v19
	v_sub_f16_e32 v145, v41, v58
	v_sub_f16_e32 v148, v128, v12
	v_add_f16_e32 v12, v12, v128
	v_sub_f16_e32 v19, v19, v23
	v_add_f16_e32 v23, v58, v41
	;; [unrolled: 2-line block ×3, first 2 shown]
	v_add_f16_e32 v53, v133, v139
	v_add_f16_e32 v56, v40, v135
	;; [unrolled: 1-line block ×4, first 2 shown]
	v_sub_f16_e32 v58, v133, v139
	v_sub_f16_e32 v40, v40, v135
	;; [unrolled: 1-line block ×4, first 2 shown]
	v_add_f16_e32 v20, v136, v137
	v_add_f16_e32 v133, v42, v35
	v_sub_f16_e32 v134, v137, v136
	v_sub_f16_e32 v35, v35, v42
	v_add_f16_e32 v42, v127, v53
	v_add_f16_e32 v135, v128, v56
	;; [unrolled: 1-line block ×3, first 2 shown]
	v_sub_f16_e32 v60, v142, v60
	v_sub_f16_e32 v136, v127, v53
	;; [unrolled: 1-line block ×7, first 2 shown]
	v_add_f16_e32 v138, v134, v132
	v_add_f16_e32 v139, v35, v13
	v_sub_f16_e32 v142, v134, v132
	v_sub_f16_e32 v150, v35, v13
	;; [unrolled: 1-line block ×4, first 2 shown]
	v_add_f16_e32 v20, v20, v42
	v_add_f16_e32 v42, v133, v135
	v_sub_f16_e32 v134, v58, v134
	v_sub_f16_e32 v35, v40, v35
	v_add_f16_e32 v58, v138, v58
	v_add_f16_e32 v40, v139, v40
	;; [unrolled: 1-line block ×3, first 2 shown]
	v_add_f16_sdwa v14, v14, v42 dst_sel:DWORD dst_unused:UNUSED_PAD src0_sel:WORD_1 src1_sel:DWORD
	v_mul_f16_e32 v53, 0x3a52, v53
	v_mul_f16_e32 v56, 0x3a52, v56
	;; [unrolled: 1-line block ×8, first 2 shown]
	v_fma_f16 v20, v20, s14, v133
	v_fma_f16 v42, v42, s14, v14
	;; [unrolled: 1-line block ×4, first 2 shown]
	v_fma_f16 v135, v136, s15, -v135
	v_fma_f16 v138, v137, s15, -v138
	v_fma_f16 v53, v136, s17, -v53
	v_fma_f16 v56, v137, s17, -v56
	v_fma_f16 v136, v134, s18, v139
	v_fma_f16 v137, v35, s18, v142
	v_fma_f16 v132, v132, s12, -v139
	v_fma_f16 v134, v134, s19, -v150
	;; [unrolled: 1-line block ×4, first 2 shown]
	v_add_f16_e32 v127, v127, v20
	v_add_f16_e32 v128, v128, v42
	;; [unrolled: 1-line block ×6, first 2 shown]
	v_fma_f16 v53, v58, s16, v136
	v_fma_f16 v56, v40, s16, v137
	;; [unrolled: 1-line block ×6, first 2 shown]
	v_add_f16_e32 v40, v56, v127
	v_add_f16_e32 v136, v35, v20
	v_sub_f16_e32 v137, v42, v58
	v_sub_f16_e32 v20, v20, v35
	v_add_f16_e32 v35, v58, v42
	v_sub_f16_e32 v42, v127, v56
	v_add_lshl_u32 v127, v46, v47, 2
	v_pack_b32_f16 v16, v55, v16
	v_pack_b32_f16 v21, v21, v54
	ds_write2_b32 v127, v16, v21 offset1:24
	v_pack_b32_f16 v16, v143, v144
	v_pack_b32_f16 v21, v146, v147
	ds_write2_b32 v127, v16, v21 offset0:48 offset1:72
	v_pack_b32_f16 v16, v18, v52
	v_pack_b32_f16 v15, v15, v22
	ds_write2_b32 v127, v16, v15 offset0:96 offset1:120
	v_pack_b32_f16 v15, v36, v37
	ds_write_b32 v127, v15 offset:576
	v_mul_u32_u24_e32 v15, 0xa8, v48
	v_sub_f16_e32 v134, v128, v53
	v_add_f16_e32 v53, v53, v128
	v_add_lshl_u32 v128, v15, v49, 2
	v_pack_b32_f16 v15, v129, v17
	v_pack_b32_f16 v16, v38, v140
	ds_write2_b32 v128, v15, v16 offset1:24
	v_pack_b32_f16 v15, v141, v145
	v_pack_b32_f16 v16, v148, v149
	ds_write2_b32 v128, v15, v16 offset0:48 offset1:72
	v_pack_b32_f16 v12, v12, v60
	v_pack_b32_f16 v15, v19, v23
	ds_write2_b32 v128, v12, v15 offset0:96 offset1:120
	v_pack_b32_f16 v12, v39, v41
	ds_write_b32 v128, v12 offset:576
	v_mul_u32_u24_e32 v12, 0xa8, v50
	v_sub_f16_e32 v139, v135, v13
	v_add_f16_e32 v142, v132, v138
	v_add_lshl_u32 v129, v12, v51, 2
	v_pack_b32_f16 v12, v133, v14
	v_pack_b32_f16 v14, v40, v134
	v_mad_u64_u32 v[39:40], s[4:5], v81, 24, s[4:5]
	v_add_f16_e32 v13, v13, v135
	v_sub_f16_e32 v132, v138, v132
	ds_write2_b32 v129, v12, v14 offset1:24
	v_pack_b32_f16 v12, v136, v137
	v_pack_b32_f16 v14, v139, v142
	ds_write2_b32 v129, v12, v14 offset0:48 offset1:72
	v_pack_b32_f16 v12, v13, v132
	v_pack_b32_f16 v13, v20, v35
	ds_write2_b32 v129, v12, v13 offset0:96 offset1:120
	v_pack_b32_f16 v12, v42, v53
	ds_write_b32 v129, v12 offset:576
	s_waitcnt lgkmcnt(0)
	; wave barrier
	s_waitcnt lgkmcnt(0)
	global_load_dwordx4 v[12:15], v[39:40], off offset:664
	global_load_dwordx2 v[35:36], v[39:40], off offset:680
	global_load_dwordx4 v[16:19], v[39:40], off offset:2008
	global_load_dwordx2 v[37:38], v[39:40], off offset:2024
	global_load_dwordx4 v[20:23], v[39:40], off offset:3352
	v_lshlrev_b32_e32 v41, 2, v81
	v_mov_b32_e32 v42, s3
	v_add_co_u32_e32 v46, vcc, s2, v41
	v_addc_co_u32_e32 v47, vcc, 0, v42, vcc
	ds_read2_b32 v[41:42], v61 offset0:112 offset1:168
	ds_read2_b32 v[48:49], v61 offset1:56
	ds_read2_b32 v[50:51], v59 offset0:80 offset1:136
	ds_read2_b32 v[52:53], v59 offset0:192 offset1:248
	;; [unrolled: 1-line block ×7, first 2 shown]
	global_load_dwordx2 v[39:40], v[39:40], off offset:3368
	s_waitcnt lgkmcnt(8)
	v_lshrrev_b32_e32 v56, 16, v42
	s_waitcnt lgkmcnt(6)
	v_lshrrev_b32_e32 v58, 16, v50
	;; [unrolled: 2-line block ×7, first 2 shown]
	v_lshrrev_b32_e32 v146, 16, v51
	ds_read2_b32 v[140:141], v57 offset0:128 offset1:184
	s_waitcnt lgkmcnt(1)
	v_lshrrev_b32_e32 v147, 16, v138
	v_lshrrev_b32_e32 v148, 16, v55
	;; [unrolled: 1-line block ×4, first 2 shown]
	s_waitcnt lgkmcnt(0)
	v_lshrrev_b32_e32 v149, 16, v140
	v_lshrrev_b32_e32 v153, 16, v52
	v_lshrrev_b32_e32 v154, 16, v139
	ds_read_b32 v152, v61 offset:4480
	v_lshrrev_b32_e32 v155, 16, v132
	v_lshrrev_b32_e32 v156, 16, v141
	s_movk_i32 s2, 0x1000
	s_waitcnt lgkmcnt(0)
	v_lshrrev_b32_e32 v157, 16, v152
	s_waitcnt vmcnt(5)
	v_mul_f16_sdwa v158, v56, v12 dst_sel:DWORD dst_unused:UNUSED_PAD src0_sel:DWORD src1_sel:WORD_1
	v_fma_f16 v158, v42, v12, -v158
	v_mul_f16_sdwa v42, v42, v12 dst_sel:DWORD dst_unused:UNUSED_PAD src0_sel:DWORD src1_sel:WORD_1
	v_fma_f16 v42, v56, v12, v42
	v_mul_f16_sdwa v56, v58, v13 dst_sel:DWORD dst_unused:UNUSED_PAD src0_sel:DWORD src1_sel:WORD_1
	v_fma_f16 v56, v50, v13, -v56
	v_mul_f16_sdwa v50, v50, v13 dst_sel:DWORD dst_unused:UNUSED_PAD src0_sel:DWORD src1_sel:WORD_1
	v_fma_f16 v50, v58, v13, v50
	v_mul_f16_sdwa v58, v60, v14 dst_sel:DWORD dst_unused:UNUSED_PAD src0_sel:DWORD src1_sel:WORD_1
	v_fma_f16 v58, v53, v14, -v58
	v_mul_f16_sdwa v53, v53, v14 dst_sel:DWORD dst_unused:UNUSED_PAD src0_sel:DWORD src1_sel:WORD_1
	v_fma_f16 v53, v60, v14, v53
	v_mul_f16_sdwa v60, v142, v15 dst_sel:DWORD dst_unused:UNUSED_PAD src0_sel:DWORD src1_sel:WORD_1
	v_fma_f16 v60, v54, v15, -v60
	v_mul_f16_sdwa v54, v54, v15 dst_sel:DWORD dst_unused:UNUSED_PAD src0_sel:DWORD src1_sel:WORD_1
	v_fma_f16 v54, v142, v15, v54
	s_waitcnt vmcnt(4)
	v_mul_f16_sdwa v142, v143, v35 dst_sel:DWORD dst_unused:UNUSED_PAD src0_sel:DWORD src1_sel:WORD_1
	v_fma_f16 v142, v133, v35, -v142
	v_mul_f16_sdwa v133, v133, v35 dst_sel:DWORD dst_unused:UNUSED_PAD src0_sel:DWORD src1_sel:WORD_1
	v_fma_f16 v133, v143, v35, v133
	v_mul_f16_sdwa v143, v144, v36 dst_sel:DWORD dst_unused:UNUSED_PAD src0_sel:DWORD src1_sel:WORD_1
	v_fma_f16 v143, v134, v36, -v143
	v_mul_f16_sdwa v134, v134, v36 dst_sel:DWORD dst_unused:UNUSED_PAD src0_sel:DWORD src1_sel:WORD_1
	v_fma_f16 v134, v144, v36, v134
	s_waitcnt vmcnt(3)
	v_mul_f16_sdwa v144, v145, v16 dst_sel:DWORD dst_unused:UNUSED_PAD src0_sel:DWORD src1_sel:WORD_1
	v_fma_f16 v144, v136, v16, -v144
	v_mul_f16_sdwa v136, v136, v16 dst_sel:DWORD dst_unused:UNUSED_PAD src0_sel:DWORD src1_sel:WORD_1
	v_fma_f16 v136, v145, v16, v136
	v_mul_f16_sdwa v145, v146, v17 dst_sel:DWORD dst_unused:UNUSED_PAD src0_sel:DWORD src1_sel:WORD_1
	v_fma_f16 v145, v51, v17, -v145
	v_mul_f16_sdwa v51, v51, v17 dst_sel:DWORD dst_unused:UNUSED_PAD src0_sel:DWORD src1_sel:WORD_1
	v_fma_f16 v51, v146, v17, v51
	v_mul_f16_sdwa v146, v147, v18 dst_sel:DWORD dst_unused:UNUSED_PAD src0_sel:DWORD src1_sel:WORD_1
	v_fma_f16 v146, v138, v18, -v146
	v_mul_f16_sdwa v138, v138, v18 dst_sel:DWORD dst_unused:UNUSED_PAD src0_sel:DWORD src1_sel:WORD_1
	v_fma_f16 v138, v147, v18, v138
	v_mul_f16_sdwa v147, v148, v19 dst_sel:DWORD dst_unused:UNUSED_PAD src0_sel:DWORD src1_sel:WORD_1
	v_fma_f16 v147, v55, v19, -v147
	v_mul_f16_sdwa v55, v55, v19 dst_sel:DWORD dst_unused:UNUSED_PAD src0_sel:DWORD src1_sel:WORD_1
	v_fma_f16 v55, v148, v19, v55
	s_waitcnt vmcnt(2)
	v_mul_f16_sdwa v148, v149, v37 dst_sel:DWORD dst_unused:UNUSED_PAD src0_sel:DWORD src1_sel:WORD_1
	v_fma_f16 v148, v140, v37, -v148
	v_mul_f16_sdwa v140, v140, v37 dst_sel:DWORD dst_unused:UNUSED_PAD src0_sel:DWORD src1_sel:WORD_1
	v_fma_f16 v140, v149, v37, v140
	v_mul_f16_sdwa v149, v150, v38 dst_sel:DWORD dst_unused:UNUSED_PAD src0_sel:DWORD src1_sel:WORD_1
	v_fma_f16 v149, v135, v38, -v149
	v_mul_f16_sdwa v135, v135, v38 dst_sel:DWORD dst_unused:UNUSED_PAD src0_sel:DWORD src1_sel:WORD_1
	v_fma_f16 v135, v150, v38, v135
	;; [unrolled: 26-line block ×3, first 2 shown]
	v_add_f16_e32 v157, v158, v143
	v_add_f16_e32 v159, v42, v134
	v_sub_f16_e32 v143, v158, v143
	v_sub_f16_e32 v42, v42, v134
	v_add_f16_e32 v134, v56, v142
	v_add_f16_e32 v158, v50, v133
	v_sub_f16_e32 v56, v56, v142
	v_sub_f16_e32 v50, v50, v133
	;; [unrolled: 4-line block ×4, first 2 shown]
	v_sub_f16_e32 v157, v157, v133
	v_sub_f16_e32 v159, v159, v142
	;; [unrolled: 1-line block ×4, first 2 shown]
	v_add_f16_e32 v162, v58, v56
	v_add_f16_e32 v163, v53, v50
	v_sub_f16_e32 v164, v58, v56
	v_sub_f16_e32 v165, v53, v50
	;; [unrolled: 1-line block ×4, first 2 shown]
	v_add_f16_e32 v54, v133, v54
	v_add_f16_e32 v60, v142, v60
	v_sub_f16_e32 v58, v143, v58
	v_sub_f16_e32 v53, v42, v53
	v_add_f16_e32 v133, v162, v143
	v_add_f16_e32 v42, v163, v42
	;; [unrolled: 1-line block ×3, first 2 shown]
	v_add_f16_sdwa v48, v48, v60 dst_sel:DWORD dst_unused:UNUSED_PAD src0_sel:WORD_1 src1_sel:DWORD
	v_mul_f16_e32 v143, 0x3a52, v157
	v_mul_f16_e32 v157, 0x3a52, v159
	;; [unrolled: 1-line block ×8, first 2 shown]
	v_fma_f16 v54, v54, s14, v142
	v_fma_f16 v60, v60, s14, v48
	;; [unrolled: 1-line block ×4, first 2 shown]
	v_fma_f16 v159, v160, s15, -v159
	v_fma_f16 v162, v161, s15, -v162
	;; [unrolled: 1-line block ×4, first 2 shown]
	v_fma_f16 v160, v58, s18, v163
	v_fma_f16 v161, v53, s18, v164
	v_fma_f16 v50, v50, s12, -v164
	v_fma_f16 v58, v58, s19, -v165
	v_fma_f16 v53, v53, s19, -v166
	v_fma_f16 v56, v56, s12, -v163
	v_add_f16_e32 v134, v134, v54
	v_add_f16_e32 v158, v158, v60
	;; [unrolled: 1-line block ×6, first 2 shown]
	v_fma_f16 v143, v133, s16, v160
	v_fma_f16 v157, v42, s16, v161
	;; [unrolled: 1-line block ×6, first 2 shown]
	v_add_f16_e32 v53, v157, v134
	v_sub_f16_e32 v160, v158, v143
	v_add_f16_e32 v161, v42, v54
	v_sub_f16_e32 v163, v60, v58
	v_sub_f16_e32 v42, v54, v42
	v_add_f16_e32 v54, v58, v60
	v_sub_f16_e32 v58, v134, v157
	v_add_f16_e32 v60, v143, v158
	v_add_f16_e32 v133, v144, v149
	;; [unrolled: 1-line block ×3, first 2 shown]
	v_sub_f16_e32 v143, v144, v149
	v_sub_f16_e32 v135, v136, v135
	v_add_f16_e32 v136, v145, v148
	v_add_f16_e32 v144, v51, v140
	v_sub_f16_e32 v145, v145, v148
	v_sub_f16_e32 v51, v51, v140
	v_add_f16_e32 v140, v146, v147
	v_add_f16_e32 v148, v138, v55
	;; [unrolled: 4-line block ×3, first 2 shown]
	v_sub_f16_e32 v164, v159, v50
	v_add_f16_e32 v165, v56, v162
	v_add_f16_e32 v50, v50, v159
	v_sub_f16_e32 v56, v162, v56
	v_sub_f16_e32 v149, v136, v133
	;; [unrolled: 1-line block ×7, first 2 shown]
	v_add_f16_e32 v158, v146, v145
	v_add_f16_e32 v159, v55, v51
	v_sub_f16_e32 v162, v146, v145
	v_sub_f16_e32 v166, v55, v51
	;; [unrolled: 1-line block ×3, first 2 shown]
	v_add_f16_e32 v138, v140, v138
	v_add_f16_e32 v140, v148, v147
	v_sub_f16_e32 v146, v143, v146
	v_sub_f16_e32 v55, v135, v55
	;; [unrolled: 1-line block ×3, first 2 shown]
	v_add_f16_e32 v143, v158, v143
	v_add_f16_e32 v135, v159, v135
	;; [unrolled: 1-line block ×3, first 2 shown]
	v_add_f16_sdwa v49, v49, v140 dst_sel:DWORD dst_unused:UNUSED_PAD src0_sel:WORD_1 src1_sel:DWORD
	v_mul_f16_e32 v133, 0x3a52, v133
	v_mul_f16_e32 v134, 0x3a52, v134
	;; [unrolled: 1-line block ×8, first 2 shown]
	v_fma_f16 v138, v138, s14, v147
	v_fma_f16 v140, v140, s14, v49
	;; [unrolled: 1-line block ×4, first 2 shown]
	v_fma_f16 v148, v149, s15, -v148
	v_fma_f16 v158, v157, s15, -v158
	;; [unrolled: 1-line block ×4, first 2 shown]
	v_fma_f16 v149, v146, s18, v159
	v_fma_f16 v157, v55, s18, v162
	v_fma_f16 v51, v51, s12, -v162
	v_fma_f16 v55, v55, s19, -v167
	;; [unrolled: 1-line block ×4, first 2 shown]
	v_add_f16_e32 v136, v136, v138
	v_add_f16_e32 v144, v144, v140
	;; [unrolled: 1-line block ×6, first 2 shown]
	v_fma_f16 v138, v143, s16, v149
	v_fma_f16 v140, v135, s16, v157
	;; [unrolled: 1-line block ×6, first 2 shown]
	v_add_f16_e32 v135, v140, v136
	v_sub_f16_e32 v146, v144, v138
	v_add_f16_e32 v149, v55, v133
	v_sub_f16_e32 v159, v148, v51
	;; [unrolled: 2-line block ×3, first 2 shown]
	v_sub_f16_e32 v136, v136, v140
	v_add_f16_e32 v138, v138, v144
	v_add_f16_e32 v133, v150, v156
	;; [unrolled: 1-line block ×5, first 2 shown]
	v_pack_b32_f16 v53, v53, v160
	v_pack_b32_f16 v42, v42, v54
	v_sub_f16_e32 v157, v134, v143
	v_add_f16_e32 v134, v143, v134
	v_sub_f16_e32 v143, v150, v156
	v_sub_f16_e32 v137, v137, v152
	;; [unrolled: 1-line block ×4, first 2 shown]
	v_add_f16_e32 v141, v153, v154
	v_add_f16_e32 v151, v139, v132
	v_sub_f16_e32 v152, v154, v153
	v_sub_f16_e32 v132, v132, v139
	v_add_f16_e32 v139, v144, v133
	v_add_f16_e32 v153, v148, v140
	ds_write_b32 v61, v53 offset:672
	v_pack_b32_f16 v53, v161, v163
	ds_write_b32 v61, v42 offset:3360
	v_pack_b32_f16 v42, v58, v60
	v_add_f16_e32 v162, v145, v158
	v_sub_f16_e32 v145, v158, v145
	v_sub_f16_e32 v154, v144, v133
	;; [unrolled: 1-line block ×7, first 2 shown]
	v_add_f16_e32 v156, v152, v150
	v_add_f16_e32 v158, v132, v52
	v_sub_f16_e32 v166, v152, v150
	v_sub_f16_e32 v167, v132, v52
	v_add_f16_e32 v139, v141, v139
	v_add_f16_e32 v141, v151, v153
	v_pack_b32_f16 v48, v142, v48
	ds_write_b32 v61, v53 offset:1344
	v_pack_b32_f16 v53, v164, v165
	v_pack_b32_f16 v50, v50, v56
	ds_write_b32 v61, v42 offset:4032
	v_pack_b32_f16 v42, v147, v49
	v_sub_f16_e32 v152, v143, v152
	v_sub_f16_e32 v132, v137, v132
	;; [unrolled: 1-line block ×4, first 2 shown]
	v_add_f16_e32 v143, v156, v143
	v_add_f16_e32 v137, v158, v137
	;; [unrolled: 1-line block ×3, first 2 shown]
	v_add_f16_sdwa v41, v41, v141 dst_sel:DWORD dst_unused:UNUSED_PAD src0_sel:WORD_1 src1_sel:DWORD
	v_mul_f16_e32 v133, 0x3a52, v133
	v_mul_f16_e32 v140, 0x3a52, v140
	;; [unrolled: 1-line block ×6, first 2 shown]
	ds_write_b32 v61, v53 offset:2016
	ds_write_b32 v61, v50 offset:2688
	ds_write2_b32 v61, v48, v42 offset1:56
	v_pack_b32_f16 v48, v149, v157
	v_mul_f16_e32 v167, 0x3b00, v150
	v_mul_f16_e32 v168, 0x3b00, v52
	v_fma_f16 v139, v139, s14, v151
	v_fma_f16 v141, v141, s14, v41
	;; [unrolled: 1-line block ×4, first 2 shown]
	v_fma_f16 v153, v154, s15, -v153
	v_fma_f16 v156, v155, s15, -v156
	;; [unrolled: 1-line block ×4, first 2 shown]
	v_fma_f16 v154, v152, s18, v158
	v_fma_f16 v155, v132, s18, v166
	ds_write_b32 v61, v48 offset:1568
	v_pack_b32_f16 v48, v159, v162
	v_fma_f16 v150, v150, s12, -v158
	v_fma_f16 v52, v52, s12, -v166
	;; [unrolled: 1-line block ×4, first 2 shown]
	v_add_f16_e32 v144, v144, v139
	v_add_f16_e32 v148, v148, v141
	;; [unrolled: 1-line block ×6, first 2 shown]
	v_fma_f16 v140, v143, s16, v154
	v_fma_f16 v141, v137, s16, v155
	ds_write_b32 v61, v48 offset:2240
	v_pack_b32_f16 v48, v51, v145
	v_fma_f16 v150, v143, s16, v150
	v_fma_f16 v52, v137, s16, v52
	;; [unrolled: 1-line block ×4, first 2 shown]
	v_add_f16_e32 v137, v141, v144
	v_sub_f16_e32 v152, v148, v140
	ds_write_b32 v61, v48 offset:2912
	v_pack_b32_f16 v48, v55, v134
	v_pack_b32_f16 v41, v151, v41
	v_add_f16_e32 v154, v132, v133
	v_sub_f16_e32 v155, v139, v143
	v_pack_b32_f16 v42, v135, v146
	ds_write_b32 v61, v48 offset:3584
	v_pack_b32_f16 v48, v136, v138
	ds_write_b32 v61, v41 offset:448
	v_pack_b32_f16 v41, v137, v152
	v_sub_f16_e32 v158, v153, v52
	v_add_f16_e32 v166, v150, v156
	ds_write_b32 v61, v48 offset:4256
	ds_write2_b32 v43, v42, v41 offset0:96 offset1:152
	v_pack_b32_f16 v41, v154, v155
	v_add_f16_e32 v52, v52, v153
	v_sub_f16_e32 v150, v156, v150
	ds_write_b32 v61, v41 offset:1792
	v_pack_b32_f16 v41, v158, v166
	v_sub_f16_e32 v153, v133, v132
	v_add_f16_e32 v139, v143, v139
	ds_write_b32 v61, v41 offset:2464
	v_pack_b32_f16 v41, v52, v150
	v_sub_f16_e32 v132, v144, v141
	v_add_f16_e32 v133, v140, v148
	ds_write_b32 v61, v41 offset:3136
	v_pack_b32_f16 v41, v153, v139
	ds_write_b32 v61, v41 offset:3808
	v_pack_b32_f16 v41, v132, v133
	ds_write_b32 v61, v41 offset:4480
	v_add_co_u32_e32 v41, vcc, s2, v46
	v_addc_co_u32_e32 v42, vcc, 0, v47, vcc
	s_waitcnt lgkmcnt(0)
	; wave barrier
	s_waitcnt lgkmcnt(0)
	global_load_dword v50, v[41:42], off offset:608
	s_movk_i32 s2, 0x1260
	v_add_co_u32_e32 v41, vcc, s2, v46
	v_addc_co_u32_e32 v42, vcc, 0, v47, vcc
	global_load_dword v51, v[41:42], off offset:2352
	global_load_dword v52, v[41:42], off offset:224
	;; [unrolled: 1-line block ×9, first 2 shown]
	s_movk_i32 s2, 0x2000
	ds_read2_b32 v[48:49], v61 offset1:56
	v_add_co_u32_e32 v46, vcc, s2, v46
	v_addc_co_u32_e32 v47, vcc, 0, v47, vcc
	global_load_dword v136, v[46:47], off offset:656
	global_load_dword v137, v[46:47], off offset:880
	;; [unrolled: 1-line block ×4, first 2 shown]
	s_waitcnt lgkmcnt(0)
	v_lshrrev_b32_e32 v134, 16, v48
	s_waitcnt vmcnt(13)
	v_mul_f16_sdwa v46, v134, v50 dst_sel:DWORD dst_unused:UNUSED_PAD src0_sel:DWORD src1_sel:WORD_1
	v_mul_f16_sdwa v47, v48, v50 dst_sel:DWORD dst_unused:UNUSED_PAD src0_sel:DWORD src1_sel:WORD_1
	v_fma_f16 v46, v48, v50, -v46
	v_fma_f16 v47, v134, v50, v47
	global_load_dword v50, v[41:42], off offset:3472
	v_pack_b32_f16 v46, v46, v47
	ds_write_b32 v61, v46
	ds_read2_b32 v[46:47], v44 offset0:76 offset1:132
	global_load_dword v134, v[41:42], off offset:1344
	global_load_dword v140, v[41:42], off offset:3696
	;; [unrolled: 1-line block ×3, first 2 shown]
	s_waitcnt lgkmcnt(0)
	v_lshrrev_b32_e32 v48, 16, v46
	s_waitcnt vmcnt(16)
	v_mul_f16_sdwa v142, v48, v51 dst_sel:DWORD dst_unused:UNUSED_PAD src0_sel:DWORD src1_sel:WORD_1
	v_fma_f16 v142, v46, v51, -v142
	v_mul_f16_sdwa v46, v46, v51 dst_sel:DWORD dst_unused:UNUSED_PAD src0_sel:DWORD src1_sel:WORD_1
	v_fma_f16 v46, v48, v51, v46
	v_pack_b32_f16 v51, v142, v46
	global_load_dword v142, v[41:42], off offset:1568
	global_load_dword v143, v[41:42], off offset:1792
	v_lshrrev_b32_e32 v46, 16, v49
	s_waitcnt vmcnt(17)
	v_mul_f16_sdwa v48, v46, v52 dst_sel:DWORD dst_unused:UNUSED_PAD src0_sel:DWORD src1_sel:WORD_1
	v_fma_f16 v48, v49, v52, -v48
	v_mul_f16_sdwa v49, v49, v52 dst_sel:DWORD dst_unused:UNUSED_PAD src0_sel:DWORD src1_sel:WORD_1
	v_fma_f16 v46, v46, v52, v49
	v_pack_b32_f16 v52, v48, v46
	ds_read2_b32 v[48:49], v61 offset0:112 offset1:168
	v_lshrrev_b32_e32 v46, 16, v47
	s_waitcnt vmcnt(16)
	v_mul_f16_sdwa v144, v46, v53 dst_sel:DWORD dst_unused:UNUSED_PAD src0_sel:DWORD src1_sel:WORD_1
	v_fma_f16 v144, v47, v53, -v144
	v_mul_f16_sdwa v47, v47, v53 dst_sel:DWORD dst_unused:UNUSED_PAD src0_sel:DWORD src1_sel:WORD_1
	v_fma_f16 v46, v46, v53, v47
	v_pack_b32_f16 v53, v144, v46
	s_waitcnt lgkmcnt(0)
	v_lshrrev_b32_e32 v144, 16, v48
	s_waitcnt vmcnt(15)
	v_mul_f16_sdwa v46, v144, v54 dst_sel:DWORD dst_unused:UNUSED_PAD src0_sel:DWORD src1_sel:WORD_1
	v_fma_f16 v145, v48, v54, -v46
	ds_read2_b32 v[46:47], v44 offset0:188 offset1:244
	v_mul_f16_sdwa v48, v48, v54 dst_sel:DWORD dst_unused:UNUSED_PAD src0_sel:DWORD src1_sel:WORD_1
	v_fma_f16 v48, v144, v54, v48
	v_pack_b32_f16 v48, v145, v48
	ds_write2_b32 v61, v52, v48 offset0:56 offset1:112
	s_waitcnt lgkmcnt(1)
	v_lshrrev_b32_e32 v48, 16, v46
	s_waitcnt vmcnt(14)
	v_mul_f16_sdwa v52, v48, v55 dst_sel:DWORD dst_unused:UNUSED_PAD src0_sel:DWORD src1_sel:WORD_1
	v_fma_f16 v52, v46, v55, -v52
	v_mul_f16_sdwa v46, v46, v55 dst_sel:DWORD dst_unused:UNUSED_PAD src0_sel:DWORD src1_sel:WORD_1
	v_fma_f16 v46, v48, v55, v46
	v_pack_b32_f16 v46, v52, v46
	ds_write2_b32 v44, v53, v46 offset0:132 offset1:188
	v_lshrrev_b32_e32 v46, 16, v49
	s_waitcnt vmcnt(13)
	v_mul_f16_sdwa v48, v46, v56 dst_sel:DWORD dst_unused:UNUSED_PAD src0_sel:DWORD src1_sel:WORD_1
	v_fma_f16 v48, v49, v56, -v48
	v_mul_f16_sdwa v49, v49, v56 dst_sel:DWORD dst_unused:UNUSED_PAD src0_sel:DWORD src1_sel:WORD_1
	v_fma_f16 v46, v46, v56, v49
	v_pack_b32_f16 v52, v48, v46
	ds_read2_b32 v[48:49], v43 offset0:96 offset1:152
	v_lshrrev_b32_e32 v46, 16, v47
	s_waitcnt vmcnt(12)
	v_mul_f16_sdwa v53, v46, v58 dst_sel:DWORD dst_unused:UNUSED_PAD src0_sel:DWORD src1_sel:WORD_1
	v_fma_f16 v53, v47, v58, -v53
	v_mul_f16_sdwa v47, v47, v58 dst_sel:DWORD dst_unused:UNUSED_PAD src0_sel:DWORD src1_sel:WORD_1
	v_fma_f16 v46, v46, v58, v47
	s_waitcnt lgkmcnt(0)
	v_lshrrev_b32_e32 v54, 16, v48
	v_pack_b32_f16 v53, v53, v46
	s_waitcnt vmcnt(11)
	v_mul_f16_sdwa v46, v54, v60 dst_sel:DWORD dst_unused:UNUSED_PAD src0_sel:DWORD src1_sel:WORD_1
	v_fma_f16 v55, v48, v60, -v46
	ds_read2_b32 v[46:47], v57 offset0:44 offset1:100
	v_mul_f16_sdwa v48, v48, v60 dst_sel:DWORD dst_unused:UNUSED_PAD src0_sel:DWORD src1_sel:WORD_1
	v_fma_f16 v48, v54, v60, v48
	v_pack_b32_f16 v48, v55, v48
	ds_write2_b32 v61, v52, v48 offset0:168 offset1:224
	s_waitcnt lgkmcnt(1)
	v_lshrrev_b32_e32 v48, 16, v46
	s_waitcnt vmcnt(10)
	v_mul_f16_sdwa v52, v48, v135 dst_sel:DWORD dst_unused:UNUSED_PAD src0_sel:DWORD src1_sel:WORD_1
	v_fma_f16 v52, v46, v135, -v52
	v_mul_f16_sdwa v46, v46, v135 dst_sel:DWORD dst_unused:UNUSED_PAD src0_sel:DWORD src1_sel:WORD_1
	v_fma_f16 v46, v48, v135, v46
	v_pack_b32_f16 v46, v52, v46
	v_add_u32_e32 v48, 0xa00, v61
	ds_write2_b32 v48, v53, v46 offset0:116 offset1:172
	v_lshrrev_b32_e32 v46, 16, v49
	s_waitcnt vmcnt(6)
	v_mul_f16_sdwa v48, v46, v139 dst_sel:DWORD dst_unused:UNUSED_PAD src0_sel:DWORD src1_sel:WORD_1
	v_fma_f16 v48, v49, v139, -v48
	v_mul_f16_sdwa v49, v49, v139 dst_sel:DWORD dst_unused:UNUSED_PAD src0_sel:DWORD src1_sel:WORD_1
	v_fma_f16 v46, v46, v139, v49
	v_pack_b32_f16 v52, v48, v46
	ds_read2_b32 v[48:49], v59 offset0:80 offset1:136
	v_lshrrev_b32_e32 v46, 16, v47
	s_waitcnt vmcnt(5)
	v_mul_f16_sdwa v53, v46, v50 dst_sel:DWORD dst_unused:UNUSED_PAD src0_sel:DWORD src1_sel:WORD_1
	v_fma_f16 v53, v47, v50, -v53
	v_mul_f16_sdwa v47, v47, v50 dst_sel:DWORD dst_unused:UNUSED_PAD src0_sel:DWORD src1_sel:WORD_1
	v_fma_f16 v46, v46, v50, v47
	v_pack_b32_f16 v50, v53, v46
	s_waitcnt lgkmcnt(0)
	v_lshrrev_b32_e32 v53, 16, v48
	s_waitcnt vmcnt(4)
	v_mul_f16_sdwa v46, v53, v134 dst_sel:DWORD dst_unused:UNUSED_PAD src0_sel:DWORD src1_sel:WORD_1
	v_fma_f16 v54, v48, v134, -v46
	ds_read2_b32 v[46:47], v57 offset0:156 offset1:212
	v_mul_f16_sdwa v48, v48, v134 dst_sel:DWORD dst_unused:UNUSED_PAD src0_sel:DWORD src1_sel:WORD_1
	v_fma_f16 v48, v53, v134, v48
	v_pack_b32_f16 v48, v54, v48
	ds_write2_b32 v59, v52, v48 offset0:24 offset1:80
	s_waitcnt lgkmcnt(1)
	v_lshrrev_b32_e32 v48, 16, v46
	s_waitcnt vmcnt(3)
	v_mul_f16_sdwa v52, v48, v140 dst_sel:DWORD dst_unused:UNUSED_PAD src0_sel:DWORD src1_sel:WORD_1
	v_fma_f16 v52, v46, v140, -v52
	v_mul_f16_sdwa v46, v46, v140 dst_sel:DWORD dst_unused:UNUSED_PAD src0_sel:DWORD src1_sel:WORD_1
	v_fma_f16 v46, v48, v140, v46
	v_pack_b32_f16 v46, v52, v46
	ds_write2_b32 v57, v50, v46 offset0:100 offset1:156
	v_lshrrev_b32_e32 v46, 16, v49
	s_waitcnt vmcnt(1)
	v_mul_f16_sdwa v48, v46, v142 dst_sel:DWORD dst_unused:UNUSED_PAD src0_sel:DWORD src1_sel:WORD_1
	v_fma_f16 v48, v49, v142, -v48
	v_mul_f16_sdwa v49, v49, v142 dst_sel:DWORD dst_unused:UNUSED_PAD src0_sel:DWORD src1_sel:WORD_1
	v_fma_f16 v46, v46, v142, v49
	v_pack_b32_f16 v50, v48, v46
	ds_read2_b32 v[48:49], v59 offset0:192 offset1:248
	v_lshrrev_b32_e32 v46, 16, v47
	v_mul_f16_sdwa v52, v46, v138 dst_sel:DWORD dst_unused:UNUSED_PAD src0_sel:DWORD src1_sel:WORD_1
	v_fma_f16 v52, v47, v138, -v52
	v_mul_f16_sdwa v47, v47, v138 dst_sel:DWORD dst_unused:UNUSED_PAD src0_sel:DWORD src1_sel:WORD_1
	v_fma_f16 v46, v46, v138, v47
	s_waitcnt lgkmcnt(0)
	v_lshrrev_b32_e32 v53, 16, v48
	v_pack_b32_f16 v52, v52, v46
	s_waitcnt vmcnt(0)
	v_mul_f16_sdwa v46, v53, v143 dst_sel:DWORD dst_unused:UNUSED_PAD src0_sel:DWORD src1_sel:WORD_1
	v_add_u32_e32 v60, 0x1000, v61
	v_fma_f16 v54, v48, v143, -v46
	ds_read2_b32 v[46:47], v60 offset0:12 offset1:68
	v_mul_f16_sdwa v48, v48, v143 dst_sel:DWORD dst_unused:UNUSED_PAD src0_sel:DWORD src1_sel:WORD_1
	v_fma_f16 v48, v53, v143, v48
	v_pack_b32_f16 v48, v54, v48
	ds_write2_b32 v59, v50, v48 offset0:136 offset1:192
	s_waitcnt lgkmcnt(1)
	v_lshrrev_b32_e32 v48, 16, v46
	v_mul_f16_sdwa v50, v48, v136 dst_sel:DWORD dst_unused:UNUSED_PAD src0_sel:DWORD src1_sel:WORD_1
	v_fma_f16 v50, v46, v136, -v50
	v_mul_f16_sdwa v46, v46, v136 dst_sel:DWORD dst_unused:UNUSED_PAD src0_sel:DWORD src1_sel:WORD_1
	v_fma_f16 v46, v48, v136, v46
	v_pack_b32_f16 v46, v50, v46
	ds_write2_b32 v45, v52, v46 offset0:84 offset1:140
	v_lshrrev_b32_e32 v45, 16, v49
	v_mul_f16_sdwa v46, v45, v141 dst_sel:DWORD dst_unused:UNUSED_PAD src0_sel:DWORD src1_sel:WORD_1
	v_mul_f16_sdwa v48, v49, v141 dst_sel:DWORD dst_unused:UNUSED_PAD src0_sel:DWORD src1_sel:WORD_1
	v_fma_f16 v46, v49, v141, -v46
	v_fma_f16 v45, v45, v141, v48
	v_pack_b32_f16 v45, v46, v45
	v_add_u32_e32 v46, 0x600, v61
	ds_write2_b32 v46, v45, v51 offset0:120 offset1:204
	v_lshrrev_b32_e32 v45, 16, v47
	v_mul_f16_sdwa v46, v45, v137 dst_sel:DWORD dst_unused:UNUSED_PAD src0_sel:DWORD src1_sel:WORD_1
	v_fma_f16 v46, v47, v137, -v46
	v_mul_f16_sdwa v47, v47, v137 dst_sel:DWORD dst_unused:UNUSED_PAD src0_sel:DWORD src1_sel:WORD_1
	v_fma_f16 v45, v45, v137, v47
	v_pack_b32_f16 v45, v46, v45
	ds_write_b32 v61, v45 offset:4368
	s_and_saveexec_b64 s[2:3], s[0:1]
	s_cbranch_execz .LBB0_17
; %bb.16:
	global_load_dword v45, v[41:42], off offset:2240
	v_add_co_u32_e32 v41, vcc, 0x1000, v41
	v_addc_co_u32_e32 v42, vcc, 0, v42, vcc
	global_load_dword v41, v[41:42], off offset:496
	ds_read_b32 v42, v61 offset:2240
	ds_read_b32 v46, v61 offset:4592
	s_waitcnt lgkmcnt(1)
	v_lshrrev_b32_e32 v47, 16, v42
	s_waitcnt lgkmcnt(0)
	v_lshrrev_b32_e32 v48, 16, v46
	s_waitcnt vmcnt(1)
	v_mul_f16_sdwa v49, v47, v45 dst_sel:DWORD dst_unused:UNUSED_PAD src0_sel:DWORD src1_sel:WORD_1
	v_mul_f16_sdwa v50, v42, v45 dst_sel:DWORD dst_unused:UNUSED_PAD src0_sel:DWORD src1_sel:WORD_1
	v_fma_f16 v42, v42, v45, -v49
	v_fma_f16 v45, v47, v45, v50
	v_pack_b32_f16 v42, v42, v45
	s_waitcnt vmcnt(0)
	v_mul_f16_sdwa v45, v48, v41 dst_sel:DWORD dst_unused:UNUSED_PAD src0_sel:DWORD src1_sel:WORD_1
	v_mul_f16_sdwa v47, v46, v41 dst_sel:DWORD dst_unused:UNUSED_PAD src0_sel:DWORD src1_sel:WORD_1
	ds_write_b32 v61, v42 offset:2240
	v_fma_f16 v42, v46, v41, -v45
	v_fma_f16 v41, v48, v41, v47
	v_pack_b32_f16 v41, v42, v41
	ds_write_b32 v61, v41 offset:4592
.LBB0_17:
	s_or_b64 exec, exec, s[2:3]
	s_waitcnt lgkmcnt(0)
	; wave barrier
	s_waitcnt lgkmcnt(0)
	ds_read2_b32 v[49:50], v61 offset1:56
	ds_read2_b32 v[51:52], v44 offset0:76 offset1:132
	ds_read2_b32 v[47:48], v61 offset0:112 offset1:168
	;; [unrolled: 1-line block ×9, first 2 shown]
	v_lshlrev_b32_e32 v135, 2, v103
	v_lshlrev_b32_e32 v134, 2, v109
	s_and_saveexec_b64 s[2:3], s[0:1]
	s_cbranch_execz .LBB0_19
; %bb.18:
	ds_read_b32 v132, v61 offset:2240
	ds_read_b32 v130, v61 offset:4592
	s_waitcnt lgkmcnt(1)
	v_lshrrev_b32_e32 v133, 16, v132
	s_waitcnt lgkmcnt(0)
	v_lshrrev_b32_e32 v131, 16, v130
.LBB0_19:
	s_or_b64 exec, exec, s[2:3]
	s_waitcnt lgkmcnt(8)
	v_pk_add_f16 v137, v49, v51 neg_lo:[0,1] neg_hi:[0,1]
	v_pk_add_f16 v51, v50, v52 neg_lo:[0,1] neg_hi:[0,1]
	s_waitcnt lgkmcnt(6)
	v_pk_add_f16 v52, v47, v53 neg_lo:[0,1] neg_hi:[0,1]
	v_pk_fma_f16 v136, v49, 2.0, v137 op_sel_hi:[1,0,1] neg_lo:[0,0,1] neg_hi:[0,0,1]
	v_pk_fma_f16 v50, v50, 2.0, v51 op_sel_hi:[1,0,1] neg_lo:[0,0,1] neg_hi:[0,0,1]
	v_pk_add_f16 v53, v48, v54 neg_lo:[0,1] neg_hi:[0,1]
	s_waitcnt lgkmcnt(0)
	; wave barrier
	s_waitcnt lgkmcnt(0)
	ds_write_b64 v88, v[136:137]
	ds_write_b64 v89, v[50:51]
	v_pk_fma_f16 v51, v47, 2.0, v52 op_sel_hi:[1,0,1] neg_lo:[0,0,1] neg_hi:[0,0,1]
	v_pk_add_f16 v54, v45, v55 neg_lo:[0,1] neg_hi:[0,1]
	ds_write_b64 v90, v[51:52]
	v_pk_fma_f16 v52, v48, 2.0, v53 op_sel_hi:[1,0,1] neg_lo:[0,0,1] neg_hi:[0,0,1]
	v_pk_add_f16 v55, v46, v56 neg_lo:[0,1] neg_hi:[0,1]
	;; [unrolled: 3-line block ×6, first 2 shown]
	v_sub_f16_e32 v130, v132, v130
	v_sub_f16_e32 v131, v133, v131
	ds_write_b64 v135, v[56:57]
	v_pk_fma_f16 v57, v41, 2.0, v58 op_sel_hi:[1,0,1] neg_lo:[0,0,1] neg_hi:[0,0,1]
	v_fma_f16 v103, v132, 2.0, -v130
	v_fma_f16 v109, v133, 2.0, -v131
	ds_write_b64 v97, v[57:58]
	v_pk_fma_f16 v58, v42, 2.0, v59 op_sel_hi:[1,0,1] neg_lo:[0,0,1] neg_hi:[0,0,1]
	ds_write_b64 v134, v[58:59]
	s_and_saveexec_b64 s[2:3], s[0:1]
	s_cbranch_execz .LBB0_21
; %bb.20:
	s_mov_b32 s4, 0x5040100
	v_perm_b32 v42, v131, v130, s4
	v_perm_b32 v41, v109, v103, s4
	ds_write_b64 v95, v[41:42]
.LBB0_21:
	s_or_b64 exec, exec, s[2:3]
	v_add_u32_e32 v41, 0x800, v61
	s_waitcnt lgkmcnt(0)
	; wave barrier
	s_waitcnt lgkmcnt(0)
	ds_read2_b32 v[49:50], v61 offset1:56
	ds_read2_b32 v[59:60], v41 offset0:76 offset1:132
	ds_read2_b32 v[47:48], v61 offset0:112 offset1:168
	;; [unrolled: 1-line block ×3, first 2 shown]
	v_add_u32_e32 v41, 0x200, v61
	ds_read2_b32 v[45:46], v41 offset0:96 offset1:152
	v_add_u32_e32 v41, 0xc00, v61
	v_add_u32_e32 v42, 0x400, v61
	ds_read2_b32 v[55:56], v41 offset0:44 offset1:100
	ds_read2_b32 v[43:44], v42 offset0:80 offset1:136
	;; [unrolled: 1-line block ×4, first 2 shown]
	v_add_u32_e32 v51, 0x1000, v61
	ds_read2_b32 v[51:52], v51 offset0:12 offset1:68
	s_and_saveexec_b64 s[2:3], s[0:1]
	s_cbranch_execz .LBB0_23
; %bb.22:
	ds_read_b32 v103, v61 offset:2240
	ds_read_b32 v130, v61 offset:4592
	s_waitcnt lgkmcnt(1)
	v_lshrrev_b32_e32 v109, 16, v103
	s_waitcnt lgkmcnt(0)
	v_lshrrev_b32_e32 v131, 16, v130
.LBB0_23:
	s_or_b64 exec, exec, s[2:3]
	s_waitcnt lgkmcnt(8)
	v_lshrrev_b32_e32 v89, 16, v59
	v_mul_f16_sdwa v143, v86, v89 dst_sel:DWORD dst_unused:UNUSED_PAD src0_sel:WORD_1 src1_sel:DWORD
	v_lshrrev_b32_e32 v92, 16, v60
	v_fma_f16 v143, v86, v59, v143
	v_mul_f16_sdwa v59, v86, v59 dst_sel:DWORD dst_unused:UNUSED_PAD src0_sel:WORD_1 src1_sel:DWORD
	v_fma_f16 v59, v86, v89, -v59
	v_mul_f16_sdwa v89, v86, v92 dst_sel:DWORD dst_unused:UNUSED_PAD src0_sel:WORD_1 src1_sel:DWORD
	s_waitcnt lgkmcnt(6)
	v_lshrrev_b32_e32 v94, 16, v57
	v_fma_f16 v89, v86, v60, v89
	v_mul_f16_sdwa v60, v86, v60 dst_sel:DWORD dst_unused:UNUSED_PAD src0_sel:WORD_1 src1_sel:DWORD
	v_fma_f16 v60, v86, v92, -v60
	v_mul_f16_sdwa v92, v86, v94 dst_sel:DWORD dst_unused:UNUSED_PAD src0_sel:WORD_1 src1_sel:DWORD
	v_lshrrev_b32_e32 v96, 16, v58
	v_fma_f16 v92, v86, v57, v92
	v_mul_f16_sdwa v57, v86, v57 dst_sel:DWORD dst_unused:UNUSED_PAD src0_sel:WORD_1 src1_sel:DWORD
	v_fma_f16 v57, v86, v94, -v57
	v_mul_f16_sdwa v94, v86, v96 dst_sel:DWORD dst_unused:UNUSED_PAD src0_sel:WORD_1 src1_sel:DWORD
	s_waitcnt lgkmcnt(4)
	v_lshrrev_b32_e32 v132, 16, v55
	v_fma_f16 v94, v86, v58, v94
	v_mul_f16_sdwa v58, v86, v58 dst_sel:DWORD dst_unused:UNUSED_PAD src0_sel:WORD_1 src1_sel:DWORD
	v_fma_f16 v58, v86, v96, -v58
	v_mul_f16_sdwa v96, v86, v132 dst_sel:DWORD dst_unused:UNUSED_PAD src0_sel:WORD_1 src1_sel:DWORD
	v_lshrrev_b32_e32 v134, 16, v56
	v_fma_f16 v96, v86, v55, v96
	v_mul_f16_sdwa v55, v86, v55 dst_sel:DWORD dst_unused:UNUSED_PAD src0_sel:WORD_1 src1_sel:DWORD
	v_fma_f16 v55, v86, v132, -v55
	v_mul_f16_sdwa v132, v86, v134 dst_sel:DWORD dst_unused:UNUSED_PAD src0_sel:WORD_1 src1_sel:DWORD
	s_waitcnt lgkmcnt(2)
	v_lshrrev_b32_e32 v136, 16, v53
	v_fma_f16 v132, v86, v56, v132
	v_mul_f16_sdwa v56, v86, v56 dst_sel:DWORD dst_unused:UNUSED_PAD src0_sel:WORD_1 src1_sel:DWORD
	v_fma_f16 v56, v86, v134, -v56
	v_mul_f16_sdwa v134, v86, v136 dst_sel:DWORD dst_unused:UNUSED_PAD src0_sel:WORD_1 src1_sel:DWORD
	v_lshrrev_b32_e32 v138, 16, v54
	v_fma_f16 v134, v86, v53, v134
	v_mul_f16_sdwa v53, v86, v53 dst_sel:DWORD dst_unused:UNUSED_PAD src0_sel:WORD_1 src1_sel:DWORD
	v_fma_f16 v53, v86, v136, -v53
	v_mul_f16_sdwa v136, v86, v138 dst_sel:DWORD dst_unused:UNUSED_PAD src0_sel:WORD_1 src1_sel:DWORD
	s_waitcnt lgkmcnt(0)
	v_lshrrev_b32_e32 v140, 16, v51
	v_fma_f16 v136, v86, v54, v136
	v_mul_f16_sdwa v54, v86, v54 dst_sel:DWORD dst_unused:UNUSED_PAD src0_sel:WORD_1 src1_sel:DWORD
	v_fma_f16 v54, v86, v138, -v54
	v_mul_f16_sdwa v138, v86, v140 dst_sel:DWORD dst_unused:UNUSED_PAD src0_sel:WORD_1 src1_sel:DWORD
	v_lshrrev_b32_e32 v142, 16, v52
	v_fma_f16 v138, v86, v51, v138
	v_mul_f16_sdwa v51, v86, v51 dst_sel:DWORD dst_unused:UNUSED_PAD src0_sel:WORD_1 src1_sel:DWORD
	v_fma_f16 v51, v86, v140, -v51
	v_mul_f16_sdwa v140, v86, v142 dst_sel:DWORD dst_unused:UNUSED_PAD src0_sel:WORD_1 src1_sel:DWORD
	v_fma_f16 v140, v86, v52, v140
	v_mul_f16_sdwa v52, v86, v52 dst_sel:DWORD dst_unused:UNUSED_PAD src0_sel:WORD_1 src1_sel:DWORD
	v_fma_f16 v52, v86, v142, -v52
	v_mul_f16_sdwa v142, v86, v131 dst_sel:DWORD dst_unused:UNUSED_PAD src0_sel:WORD_1 src1_sel:DWORD
	v_lshrrev_b32_e32 v88, 16, v49
	v_fma_f16 v142, v86, v130, v142
	v_mul_f16_sdwa v130, v86, v130 dst_sel:DWORD dst_unused:UNUSED_PAD src0_sel:WORD_1 src1_sel:DWORD
	v_lshrrev_b32_e32 v90, 16, v50
	v_fma_f16 v86, v86, v131, -v130
	v_sub_f16_e32 v130, v49, v143
	v_sub_f16_e32 v59, v88, v59
	v_lshrrev_b32_e32 v93, 16, v47
	v_fma_f16 v49, v49, 2.0, -v130
	v_fma_f16 v131, v88, 2.0, -v59
	v_sub_f16_e32 v143, v50, v89
	v_sub_f16_e32 v60, v90, v60
	v_lshrrev_b32_e32 v95, 16, v48
	v_fma_f16 v50, v50, 2.0, -v143
	v_fma_f16 v144, v90, 2.0, -v60
	v_sub_f16_e32 v92, v47, v92
	v_sub_f16_e32 v57, v93, v57
	v_pack_b32_f16 v49, v49, v131
	v_pack_b32_f16 v59, v130, v59
	v_lshrrev_b32_e32 v97, 16, v45
	v_fma_f16 v47, v47, 2.0, -v92
	v_fma_f16 v93, v93, 2.0, -v57
	v_sub_f16_e32 v94, v48, v94
	v_sub_f16_e32 v58, v95, v58
	s_waitcnt lgkmcnt(0)
	; wave barrier
	ds_write2_b32 v98, v49, v59 offset1:2
	v_pack_b32_f16 v49, v50, v144
	v_pack_b32_f16 v50, v143, v60
	v_lshrrev_b32_e32 v133, 16, v46
	v_fma_f16 v48, v48, 2.0, -v94
	v_fma_f16 v95, v95, 2.0, -v58
	v_sub_f16_e32 v96, v45, v96
	v_sub_f16_e32 v55, v97, v55
	ds_write2_b32 v99, v49, v50 offset1:2
	v_pack_b32_f16 v47, v47, v93
	v_pack_b32_f16 v49, v92, v57
	v_lshrrev_b32_e32 v135, 16, v43
	v_fma_f16 v45, v45, 2.0, -v96
	v_fma_f16 v97, v97, 2.0, -v55
	v_sub_f16_e32 v132, v46, v132
	v_sub_f16_e32 v56, v133, v56
	;; [unrolled: 8-line block ×5, first 2 shown]
	ds_write2_b32 v104, v45, v46 offset1:2
	v_pack_b32_f16 v43, v43, v135
	v_pack_b32_f16 v45, v134, v53
	v_fma_f16 v41, v41, 2.0, -v138
	v_fma_f16 v139, v139, 2.0, -v51
	v_sub_f16_e32 v140, v42, v140
	v_sub_f16_e32 v52, v141, v52
	ds_write2_b32 v105, v43, v45 offset1:2
	v_pack_b32_f16 v43, v44, v137
	v_pack_b32_f16 v44, v136, v54
	v_fma_f16 v42, v42, 2.0, -v140
	v_fma_f16 v141, v141, 2.0, -v52
	v_sub_f16_e32 v88, v103, v142
	v_sub_f16_e32 v90, v109, v86
	ds_write2_b32 v106, v43, v44 offset1:2
	v_pack_b32_f16 v41, v41, v139
	v_pack_b32_f16 v43, v138, v51
	v_fma_f16 v86, v103, 2.0, -v88
	v_fma_f16 v89, v109, 2.0, -v90
	ds_write2_b32 v107, v41, v43 offset1:2
	v_pack_b32_f16 v41, v42, v141
	v_pack_b32_f16 v42, v140, v52
	ds_write2_b32 v108, v41, v42 offset1:2
	s_and_saveexec_b64 s[2:3], s[0:1]
	s_cbranch_execz .LBB0_25
; %bb.24:
	s_movk_i32 s4, 0x4fc
	v_and_or_b32 v41, v85, s4, v84
	s_mov_b32 s4, 0x5040100
	v_lshlrev_b32_e32 v41, 2, v41
	v_perm_b32 v42, v89, v86, s4
	v_perm_b32 v43, v90, v88, s4
	ds_write2_b32 v41, v42, v43 offset1:2
.LBB0_25:
	s_or_b64 exec, exec, s[2:3]
	v_add_u32_e32 v41, 0x800, v61
	s_waitcnt lgkmcnt(0)
	; wave barrier
	s_waitcnt lgkmcnt(0)
	ds_read2_b32 v[49:50], v61 offset1:56
	ds_read2_b32 v[59:60], v41 offset0:76 offset1:132
	ds_read2_b32 v[47:48], v61 offset0:112 offset1:168
	;; [unrolled: 1-line block ×3, first 2 shown]
	v_add_u32_e32 v41, 0x200, v61
	ds_read2_b32 v[45:46], v41 offset0:96 offset1:152
	v_add_u32_e32 v41, 0xc00, v61
	v_add_u32_e32 v42, 0x400, v61
	ds_read2_b32 v[55:56], v41 offset0:44 offset1:100
	ds_read2_b32 v[43:44], v42 offset0:80 offset1:136
	;; [unrolled: 1-line block ×4, first 2 shown]
	v_add_u32_e32 v51, 0x1000, v61
	ds_read2_b32 v[51:52], v51 offset0:12 offset1:68
	s_and_saveexec_b64 s[2:3], s[0:1]
	s_cbranch_execz .LBB0_27
; %bb.26:
	ds_read_b32 v86, v61 offset:2240
	ds_read_b32 v88, v61 offset:4592
	s_waitcnt lgkmcnt(1)
	v_lshrrev_b32_e32 v89, 16, v86
	s_waitcnt lgkmcnt(0)
	v_lshrrev_b32_e32 v90, 16, v88
.LBB0_27:
	s_or_b64 exec, exec, s[2:3]
	s_waitcnt lgkmcnt(8)
	v_lshrrev_b32_e32 v92, 16, v59
	v_mul_f16_sdwa v131, v91, v92 dst_sel:DWORD dst_unused:UNUSED_PAD src0_sel:WORD_1 src1_sel:DWORD
	v_lshrrev_b32_e32 v94, 16, v60
	v_fma_f16 v131, v91, v59, v131
	v_mul_f16_sdwa v59, v91, v59 dst_sel:DWORD dst_unused:UNUSED_PAD src0_sel:WORD_1 src1_sel:DWORD
	v_fma_f16 v59, v91, v92, -v59
	v_mul_f16_sdwa v92, v91, v94 dst_sel:DWORD dst_unused:UNUSED_PAD src0_sel:WORD_1 src1_sel:DWORD
	s_waitcnt lgkmcnt(6)
	v_lshrrev_b32_e32 v96, 16, v57
	v_fma_f16 v92, v91, v60, v92
	v_mul_f16_sdwa v60, v91, v60 dst_sel:DWORD dst_unused:UNUSED_PAD src0_sel:WORD_1 src1_sel:DWORD
	v_fma_f16 v60, v91, v94, -v60
	v_mul_f16_sdwa v94, v91, v96 dst_sel:DWORD dst_unused:UNUSED_PAD src0_sel:WORD_1 src1_sel:DWORD
	v_lshrrev_b32_e32 v98, 16, v58
	v_fma_f16 v94, v91, v57, v94
	v_mul_f16_sdwa v57, v91, v57 dst_sel:DWORD dst_unused:UNUSED_PAD src0_sel:WORD_1 src1_sel:DWORD
	v_fma_f16 v57, v91, v96, -v57
	v_mul_f16_sdwa v96, v91, v98 dst_sel:DWORD dst_unused:UNUSED_PAD src0_sel:WORD_1 src1_sel:DWORD
	s_waitcnt lgkmcnt(4)
	v_lshrrev_b32_e32 v100, 16, v55
	v_fma_f16 v96, v91, v58, v96
	v_mul_f16_sdwa v58, v91, v58 dst_sel:DWORD dst_unused:UNUSED_PAD src0_sel:WORD_1 src1_sel:DWORD
	v_fma_f16 v58, v91, v98, -v58
	;; [unrolled: 11-line block ×4, first 2 shown]
	v_mul_f16_sdwa v106, v91, v108 dst_sel:DWORD dst_unused:UNUSED_PAD src0_sel:WORD_1 src1_sel:DWORD
	v_lshrrev_b32_e32 v130, 16, v52
	v_fma_f16 v106, v91, v51, v106
	v_mul_f16_sdwa v51, v91, v51 dst_sel:DWORD dst_unused:UNUSED_PAD src0_sel:WORD_1 src1_sel:DWORD
	v_fma_f16 v51, v91, v108, -v51
	v_mul_f16_sdwa v108, v91, v130 dst_sel:DWORD dst_unused:UNUSED_PAD src0_sel:WORD_1 src1_sel:DWORD
	v_lshrrev_b32_e32 v84, 16, v49
	v_fma_f16 v108, v91, v52, v108
	v_mul_f16_sdwa v52, v91, v52 dst_sel:DWORD dst_unused:UNUSED_PAD src0_sel:WORD_1 src1_sel:DWORD
	v_lshrrev_b32_e32 v93, 16, v50
	v_fma_f16 v52, v91, v130, -v52
	v_sub_f16_e32 v130, v49, v131
	v_sub_f16_e32 v59, v84, v59
	v_lshrrev_b32_e32 v95, 16, v47
	v_fma_f16 v49, v49, 2.0, -v130
	v_fma_f16 v84, v84, 2.0, -v59
	v_sub_f16_e32 v92, v50, v92
	v_sub_f16_e32 v60, v93, v60
	v_lshrrev_b32_e32 v97, 16, v48
	v_fma_f16 v50, v50, 2.0, -v92
	v_fma_f16 v93, v93, 2.0, -v60
	v_sub_f16_e32 v94, v47, v94
	v_sub_f16_e32 v57, v95, v57
	v_pack_b32_f16 v49, v49, v84
	v_pack_b32_f16 v59, v130, v59
	v_lshrrev_b32_e32 v99, 16, v45
	v_fma_f16 v47, v47, 2.0, -v94
	v_fma_f16 v95, v95, 2.0, -v57
	v_sub_f16_e32 v96, v48, v96
	v_sub_f16_e32 v58, v97, v58
	s_waitcnt lgkmcnt(0)
	; wave barrier
	ds_write2_b32 v110, v49, v59 offset1:4
	v_pack_b32_f16 v49, v50, v93
	v_pack_b32_f16 v50, v92, v60
	v_lshrrev_b32_e32 v101, 16, v46
	v_fma_f16 v48, v48, 2.0, -v96
	v_fma_f16 v97, v97, 2.0, -v58
	v_sub_f16_e32 v98, v45, v98
	v_sub_f16_e32 v55, v99, v55
	ds_write2_b32 v111, v49, v50 offset1:4
	v_pack_b32_f16 v47, v47, v95
	v_pack_b32_f16 v49, v94, v57
	v_lshrrev_b32_e32 v103, 16, v43
	v_fma_f16 v45, v45, 2.0, -v98
	v_fma_f16 v99, v99, 2.0, -v55
	v_sub_f16_e32 v100, v46, v100
	v_sub_f16_e32 v56, v101, v56
	;; [unrolled: 8-line block ×5, first 2 shown]
	ds_write2_b32 v115, v45, v46 offset1:4
	v_pack_b32_f16 v43, v43, v103
	v_pack_b32_f16 v45, v102, v53
	v_fma_f16 v41, v41, 2.0, -v106
	v_fma_f16 v107, v107, 2.0, -v51
	v_sub_f16_e32 v108, v42, v108
	v_sub_f16_e32 v52, v109, v52
	ds_write2_b32 v116, v43, v45 offset1:4
	v_pack_b32_f16 v43, v44, v105
	v_pack_b32_f16 v44, v104, v54
	v_fma_f16 v42, v42, 2.0, -v108
	v_fma_f16 v109, v109, 2.0, -v52
	ds_write2_b32 v117, v43, v44 offset1:4
	v_pack_b32_f16 v41, v41, v107
	v_pack_b32_f16 v43, v106, v51
	ds_write2_b32 v118, v41, v43 offset1:4
	v_pack_b32_f16 v41, v42, v109
	v_pack_b32_f16 v42, v108, v52
	ds_write2_b32 v119, v41, v42 offset1:4
	s_and_saveexec_b64 s[2:3], s[0:1]
	s_cbranch_execz .LBB0_29
; %bb.28:
	v_mul_f16_sdwa v41, v91, v90 dst_sel:DWORD dst_unused:UNUSED_PAD src0_sel:WORD_1 src1_sel:DWORD
	v_mul_f16_sdwa v43, v91, v88 dst_sel:DWORD dst_unused:UNUSED_PAD src0_sel:WORD_1 src1_sel:DWORD
	v_fma_f16 v41, v91, v88, v41
	v_fma_f16 v43, v91, v90, -v43
	v_sub_f16_e32 v41, v86, v41
	v_sub_f16_e32 v43, v89, v43
	s_movk_i32 s4, 0x4f8
	v_fma_f16 v42, v86, 2.0, -v41
	v_fma_f16 v44, v89, 2.0, -v43
	v_and_or_b32 v45, v85, s4, v87
	v_lshlrev_b32_e32 v45, 2, v45
	v_pack_b32_f16 v42, v42, v44
	v_pack_b32_f16 v41, v41, v43
	ds_write2_b32 v45, v42, v41 offset1:4
.LBB0_29:
	s_or_b64 exec, exec, s[2:3]
	v_add_u32_e32 v41, 0x400, v61
	s_waitcnt lgkmcnt(0)
	; wave barrier
	s_waitcnt lgkmcnt(0)
	ds_read2_b32 v[48:49], v41 offset0:80 offset1:136
	v_add_u32_e32 v42, 0xc00, v61
	ds_read2_b32 v[50:51], v42 offset0:16 offset1:72
	ds_read2_b32 v[52:53], v41 offset0:192 offset1:248
	;; [unrolled: 1-line block ×3, first 2 shown]
	s_waitcnt lgkmcnt(3)
	v_lshrrev_b32_e32 v90, 16, v49
	v_mul_f16_sdwa v111, v27, v90 dst_sel:DWORD dst_unused:UNUSED_PAD src0_sel:WORD_1 src1_sel:DWORD
	s_waitcnt lgkmcnt(2)
	v_lshrrev_b32_e32 v91, 16, v50
	v_fma_f16 v111, v27, v49, v111
	v_mul_f16_sdwa v49, v27, v49 dst_sel:DWORD dst_unused:UNUSED_PAD src0_sel:WORD_1 src1_sel:DWORD
	v_fma_f16 v49, v27, v90, -v49
	v_mul_f16_sdwa v90, v28, v91 dst_sel:DWORD dst_unused:UNUSED_PAD src0_sel:WORD_1 src1_sel:DWORD
	s_waitcnt lgkmcnt(1)
	v_lshrrev_b32_e32 v93, 16, v52
	v_fma_f16 v90, v28, v50, v90
	v_mul_f16_sdwa v50, v28, v50 dst_sel:DWORD dst_unused:UNUSED_PAD src0_sel:WORD_1 src1_sel:DWORD
	v_fma_f16 v50, v28, v91, -v50
	v_mul_f16_sdwa v91, v27, v93 dst_sel:DWORD dst_unused:UNUSED_PAD src0_sel:WORD_1 src1_sel:DWORD
	v_lshrrev_b32_e32 v94, 16, v51
	v_add_u32_e32 v44, 0x800, v61
	v_fma_f16 v91, v27, v52, v91
	v_mul_f16_sdwa v52, v27, v52 dst_sel:DWORD dst_unused:UNUSED_PAD src0_sel:WORD_1 src1_sel:DWORD
	ds_read2_b32 v[58:59], v44 offset0:48 offset1:104
	v_fma_f16 v52, v27, v93, -v52
	v_mul_f16_sdwa v93, v28, v94 dst_sel:DWORD dst_unused:UNUSED_PAD src0_sel:WORD_1 src1_sel:DWORD
	v_lshrrev_b32_e32 v96, 16, v53
	v_fma_f16 v93, v28, v51, v93
	v_mul_f16_sdwa v51, v28, v51 dst_sel:DWORD dst_unused:UNUSED_PAD src0_sel:WORD_1 src1_sel:DWORD
	v_fma_f16 v51, v28, v94, -v51
	v_mul_f16_sdwa v94, v27, v96 dst_sel:DWORD dst_unused:UNUSED_PAD src0_sel:WORD_1 src1_sel:DWORD
	s_waitcnt lgkmcnt(1)
	v_lshrrev_b32_e32 v97, 16, v56
	v_fma_f16 v94, v27, v53, v94
	v_mul_f16_sdwa v53, v27, v53 dst_sel:DWORD dst_unused:UNUSED_PAD src0_sel:WORD_1 src1_sel:DWORD
	v_fma_f16 v53, v27, v96, -v53
	v_mul_f16_sdwa v96, v28, v97 dst_sel:DWORD dst_unused:UNUSED_PAD src0_sel:WORD_1 src1_sel:DWORD
	s_waitcnt lgkmcnt(0)
	v_lshrrev_b32_e32 v99, 16, v58
	v_add_u32_e32 v45, 0xe00, v61
	v_fma_f16 v96, v28, v56, v96
	v_mul_f16_sdwa v56, v28, v56 dst_sel:DWORD dst_unused:UNUSED_PAD src0_sel:WORD_1 src1_sel:DWORD
	ds_read2_b32 v[86:87], v45 offset0:112 offset1:168
	v_fma_f16 v56, v28, v97, -v56
	v_mul_f16_sdwa v97, v27, v99 dst_sel:DWORD dst_unused:UNUSED_PAD src0_sel:WORD_1 src1_sel:DWORD
	v_lshrrev_b32_e32 v100, 16, v57
	v_fma_f16 v97, v27, v58, v97
	v_mul_f16_sdwa v58, v27, v58 dst_sel:DWORD dst_unused:UNUSED_PAD src0_sel:WORD_1 src1_sel:DWORD
	ds_read2_b32 v[88:89], v44 offset0:160 offset1:216
	v_fma_f16 v58, v27, v99, -v58
	v_mul_f16_sdwa v99, v28, v100 dst_sel:DWORD dst_unused:UNUSED_PAD src0_sel:WORD_1 src1_sel:DWORD
	v_lshrrev_b32_e32 v102, 16, v59
	v_fma_f16 v99, v28, v57, v99
	v_mul_f16_sdwa v57, v28, v57 dst_sel:DWORD dst_unused:UNUSED_PAD src0_sel:WORD_1 src1_sel:DWORD
	v_fma_f16 v57, v28, v100, -v57
	v_mul_f16_sdwa v100, v27, v102 dst_sel:DWORD dst_unused:UNUSED_PAD src0_sel:WORD_1 src1_sel:DWORD
	s_waitcnt lgkmcnt(1)
	v_lshrrev_b32_e32 v103, 16, v86
	v_fma_f16 v100, v27, v59, v100
	v_mul_f16_sdwa v59, v27, v59 dst_sel:DWORD dst_unused:UNUSED_PAD src0_sel:WORD_1 src1_sel:DWORD
	v_fma_f16 v59, v27, v102, -v59
	v_mul_f16_sdwa v102, v28, v103 dst_sel:DWORD dst_unused:UNUSED_PAD src0_sel:WORD_1 src1_sel:DWORD
	s_waitcnt lgkmcnt(0)
	v_lshrrev_b32_e32 v106, 16, v88
	v_fma_f16 v102, v28, v86, v102
	v_mul_f16_sdwa v86, v28, v86 dst_sel:DWORD dst_unused:UNUSED_PAD src0_sel:WORD_1 src1_sel:DWORD
	ds_read_b32 v105, v61 offset:4480
	v_fma_f16 v86, v28, v103, -v86
	v_mul_f16_sdwa v103, v27, v106 dst_sel:DWORD dst_unused:UNUSED_PAD src0_sel:WORD_1 src1_sel:DWORD
	v_lshrrev_b32_e32 v107, 16, v87
	v_fma_f16 v103, v27, v88, v103
	v_mul_f16_sdwa v88, v27, v88 dst_sel:DWORD dst_unused:UNUSED_PAD src0_sel:WORD_1 src1_sel:DWORD
	v_fma_f16 v88, v27, v106, -v88
	v_mul_f16_sdwa v106, v28, v107 dst_sel:DWORD dst_unused:UNUSED_PAD src0_sel:WORD_1 src1_sel:DWORD
	ds_read2_b32 v[46:47], v61 offset1:56
	v_lshrrev_b32_e32 v109, 16, v89
	v_fma_f16 v106, v28, v87, v106
	v_mul_f16_sdwa v87, v28, v87 dst_sel:DWORD dst_unused:UNUSED_PAD src0_sel:WORD_1 src1_sel:DWORD
	v_fma_f16 v87, v28, v107, -v87
	v_mul_f16_sdwa v107, v27, v109 dst_sel:DWORD dst_unused:UNUSED_PAD src0_sel:WORD_1 src1_sel:DWORD
	s_waitcnt lgkmcnt(1)
	v_lshrrev_b32_e32 v110, 16, v105
	v_fma_f16 v107, v27, v89, v107
	v_mul_f16_sdwa v89, v27, v89 dst_sel:DWORD dst_unused:UNUSED_PAD src0_sel:WORD_1 src1_sel:DWORD
	v_fma_f16 v27, v27, v109, -v89
	v_mul_f16_sdwa v89, v28, v110 dst_sel:DWORD dst_unused:UNUSED_PAD src0_sel:WORD_1 src1_sel:DWORD
	v_fma_f16 v89, v28, v105, v89
	v_mul_f16_sdwa v105, v28, v105 dst_sel:DWORD dst_unused:UNUSED_PAD src0_sel:WORD_1 src1_sel:DWORD
	v_add_f16_e32 v109, v111, v90
	s_waitcnt lgkmcnt(0)
	v_lshrrev_b32_e32 v60, 16, v46
	v_fma_f16 v28, v28, v110, -v105
	v_add_f16_e32 v105, v46, v111
	v_fma_f16 v46, v109, -0.5, v46
	v_sub_f16_e32 v109, v49, v50
	s_mov_b32 s2, 0xbaee
	s_movk_i32 s3, 0x3aee
	v_fma_f16 v110, v109, s2, v46
	v_fma_f16 v46, v109, s3, v46
	v_add_f16_e32 v109, v60, v49
	v_add_f16_e32 v49, v49, v50
	ds_read2_b32 v[54:55], v61 offset0:112 offset1:168
	v_add_f16_e32 v105, v105, v90
	v_add_f16_e32 v109, v109, v50
	v_fma_f16 v49, v49, -0.5, v60
	v_sub_f16_e32 v50, v111, v90
	v_add_f16_e32 v90, v91, v93
	v_lshrrev_b32_e32 v92, 16, v47
	v_fma_f16 v60, v50, s3, v49
	v_fma_f16 v49, v50, s2, v49
	v_add_f16_e32 v50, v47, v91
	v_fma_f16 v47, v90, -0.5, v47
	v_sub_f16_e32 v90, v52, v51
	v_fma_f16 v111, v90, s2, v47
	v_fma_f16 v47, v90, s3, v47
	v_add_f16_e32 v90, v92, v52
	v_add_f16_e32 v90, v90, v51
	;; [unrolled: 1-line block ×3, first 2 shown]
	v_fma_f16 v51, v51, -0.5, v92
	v_sub_f16_e32 v52, v91, v93
	v_add_f16_e32 v92, v94, v96
	s_waitcnt lgkmcnt(0)
	v_lshrrev_b32_e32 v95, 16, v54
	v_fma_f16 v91, v52, s3, v51
	v_fma_f16 v51, v52, s2, v51
	v_add_f16_e32 v52, v54, v94
	v_fma_f16 v54, v92, -0.5, v54
	v_sub_f16_e32 v92, v53, v56
	v_add_u32_e32 v43, 0x200, v61
	v_add_f16_e32 v50, v50, v93
	v_fma_f16 v93, v92, s2, v54
	v_fma_f16 v54, v92, s3, v54
	v_add_f16_e32 v92, v95, v53
	v_add_f16_e32 v53, v53, v56
	ds_read2_b32 v[84:85], v43 offset0:96 offset1:152
	v_add_f16_e32 v92, v92, v56
	v_fma_f16 v53, v53, -0.5, v95
	v_sub_f16_e32 v56, v94, v96
	v_add_f16_e32 v95, v97, v99
	v_lshrrev_b32_e32 v98, 16, v55
	v_fma_f16 v94, v56, s3, v53
	v_fma_f16 v53, v56, s2, v53
	v_add_f16_e32 v56, v55, v97
	v_fma_f16 v55, v95, -0.5, v55
	v_sub_f16_e32 v95, v58, v57
	v_add_f16_e32 v52, v52, v96
	v_fma_f16 v96, v95, s2, v55
	v_fma_f16 v55, v95, s3, v55
	v_add_f16_e32 v95, v98, v58
	v_add_f16_e32 v95, v95, v57
	;; [unrolled: 1-line block ×3, first 2 shown]
	v_fma_f16 v57, v57, -0.5, v98
	v_sub_f16_e32 v58, v97, v99
	v_add_f16_e32 v98, v100, v102
	s_waitcnt lgkmcnt(0)
	v_lshrrev_b32_e32 v101, 16, v84
	v_fma_f16 v97, v58, s3, v57
	v_fma_f16 v57, v58, s2, v57
	v_add_f16_e32 v58, v84, v100
	v_fma_f16 v84, v98, -0.5, v84
	v_sub_f16_e32 v98, v59, v86
	v_add_f16_e32 v56, v56, v99
	v_fma_f16 v99, v98, s2, v84
	v_fma_f16 v84, v98, s3, v84
	v_add_f16_e32 v98, v101, v59
	v_add_f16_e32 v59, v59, v86
	v_add_f16_e32 v98, v98, v86
	v_fma_f16 v59, v59, -0.5, v101
	v_sub_f16_e32 v86, v100, v102
	v_add_f16_e32 v101, v103, v106
	v_lshrrev_b32_e32 v104, 16, v85
	v_fma_f16 v100, v86, s3, v59
	v_fma_f16 v59, v86, s2, v59
	v_add_f16_e32 v86, v85, v103
	v_fma_f16 v85, v101, -0.5, v85
	v_sub_f16_e32 v101, v88, v87
	v_add_f16_e32 v58, v58, v102
	v_fma_f16 v102, v101, s2, v85
	v_fma_f16 v85, v101, s3, v85
	v_add_f16_e32 v101, v104, v88
	v_add_f16_e32 v101, v101, v87
	v_add_f16_e32 v87, v88, v87
	v_fma_f16 v87, v87, -0.5, v104
	v_sub_f16_e32 v88, v103, v106
	v_add_f16_e32 v104, v107, v89
	;; [unrolled: 15-line block ×3, first 2 shown]
	v_fma_f16 v89, v28, s3, v27
	v_fma_f16 v27, v28, s2, v27
	v_pack_b32_f16 v28, v105, v109
	v_pack_b32_f16 v60, v110, v60
	s_waitcnt lgkmcnt(0)
	; wave barrier
	ds_write2_b32 v120, v28, v60 offset1:8
	v_pack_b32_f16 v28, v46, v49
	ds_write_b32 v120, v28 offset:64
	v_pack_b32_f16 v28, v50, v90
	v_pack_b32_f16 v46, v111, v91
	ds_write2_b32 v121, v28, v46 offset1:8
	v_pack_b32_f16 v28, v47, v51
	ds_write_b32 v121, v28 offset:64
	v_pack_b32_f16 v28, v52, v92
	v_pack_b32_f16 v46, v93, v94
	;; [unrolled: 5-line block ×6, first 2 shown]
	v_pack_b32_f16 v27, v48, v27
	ds_write2_b32 v126, v28, v46 offset1:8
	ds_write_b32 v126, v27 offset:64
	s_waitcnt lgkmcnt(0)
	; wave barrier
	s_waitcnt lgkmcnt(0)
	ds_read2_b32 v[27:28], v61 offset0:112 offset1:168
	ds_read2_b32 v[46:47], v41 offset0:80 offset1:136
	ds_read2_b32 v[48:49], v61 offset1:56
	ds_read2_b32 v[50:51], v41 offset0:192 offset1:248
	ds_read2_b32 v[52:53], v44 offset0:160 offset1:216
	s_waitcnt lgkmcnt(4)
	v_lshrrev_b32_e32 v60, 16, v28
	v_mul_f16_sdwa v106, v0, v60 dst_sel:DWORD dst_unused:UNUSED_PAD src0_sel:WORD_1 src1_sel:DWORD
	s_waitcnt lgkmcnt(3)
	v_lshrrev_b32_e32 v88, 16, v46
	v_fma_f16 v106, v0, v28, v106
	v_mul_f16_sdwa v28, v0, v28 dst_sel:DWORD dst_unused:UNUSED_PAD src0_sel:WORD_1 src1_sel:DWORD
	ds_read2_b32 v[54:55], v42 offset0:16 offset1:72
	v_fma_f16 v0, v0, v60, -v28
	v_mul_f16_sdwa v28, v1, v88 dst_sel:DWORD dst_unused:UNUSED_PAD src0_sel:WORD_1 src1_sel:DWORD
	s_waitcnt lgkmcnt(2)
	v_lshrrev_b32_e32 v89, 16, v51
	v_fma_f16 v28, v1, v46, v28
	v_mul_f16_sdwa v46, v1, v46 dst_sel:DWORD dst_unused:UNUSED_PAD src0_sel:WORD_1 src1_sel:DWORD
	ds_read2_b32 v[56:57], v45 offset0:112 offset1:168
	v_fma_f16 v1, v1, v88, -v46
	;; [unrolled: 7-line block ×3, first 2 shown]
	v_mul_f16_sdwa v51, v3, v90 dst_sel:DWORD dst_unused:UNUSED_PAD src0_sel:WORD_1 src1_sel:DWORD
	s_waitcnt lgkmcnt(2)
	v_lshrrev_b32_e32 v91, 16, v55
	v_fma_f16 v51, v3, v52, v51
	v_mul_f16_sdwa v52, v3, v52 dst_sel:DWORD dst_unused:UNUSED_PAD src0_sel:WORD_1 src1_sel:DWORD
	v_fma_f16 v3, v3, v90, -v52
	v_mul_f16_sdwa v52, v29, v91 dst_sel:DWORD dst_unused:UNUSED_PAD src0_sel:WORD_1 src1_sel:DWORD
	s_waitcnt lgkmcnt(1)
	v_lshrrev_b32_e32 v92, 16, v56
	v_fma_f16 v52, v29, v55, v52
	v_mul_f16_sdwa v55, v29, v55 dst_sel:DWORD dst_unused:UNUSED_PAD src0_sel:WORD_1 src1_sel:DWORD
	ds_read2_b32 v[84:85], v44 offset0:48 offset1:104
	v_fma_f16 v29, v29, v91, -v55
	v_mul_f16_sdwa v55, v30, v92 dst_sel:DWORD dst_unused:UNUSED_PAD src0_sel:WORD_1 src1_sel:DWORD
	s_waitcnt lgkmcnt(1)
	v_lshrrev_b32_e32 v93, 16, v58
	v_fma_f16 v55, v30, v56, v55
	v_mul_f16_sdwa v56, v30, v56 dst_sel:DWORD dst_unused:UNUSED_PAD src0_sel:WORD_1 src1_sel:DWORD
	v_fma_f16 v30, v30, v92, -v56
	v_mul_f16_sdwa v56, v4, v93 dst_sel:DWORD dst_unused:UNUSED_PAD src0_sel:WORD_1 src1_sel:DWORD
	ds_read2_b32 v[86:87], v42 offset0:128 offset1:184
	v_lshrrev_b32_e32 v94, 16, v47
	v_fma_f16 v56, v4, v58, v56
	v_mul_f16_sdwa v58, v4, v58 dst_sel:DWORD dst_unused:UNUSED_PAD src0_sel:WORD_1 src1_sel:DWORD
	v_fma_f16 v4, v4, v93, -v58
	v_mul_f16_sdwa v58, v5, v94 dst_sel:DWORD dst_unused:UNUSED_PAD src0_sel:WORD_1 src1_sel:DWORD
	s_waitcnt lgkmcnt(1)
	v_lshrrev_b32_e32 v95, 16, v84
	v_fma_f16 v58, v5, v47, v58
	v_mul_f16_sdwa v47, v5, v47 dst_sel:DWORD dst_unused:UNUSED_PAD src0_sel:WORD_1 src1_sel:DWORD
	v_lshrrev_b32_e32 v96, 16, v53
	v_fma_f16 v5, v5, v94, -v47
	v_mul_f16_sdwa v47, v6, v95 dst_sel:DWORD dst_unused:UNUSED_PAD src0_sel:WORD_1 src1_sel:DWORD
	v_mul_f16_sdwa v60, v6, v84 dst_sel:DWORD dst_unused:UNUSED_PAD src0_sel:WORD_1 src1_sel:DWORD
	v_fma_f16 v47, v6, v84, v47
	v_fma_f16 v6, v6, v95, -v60
	v_mul_f16_sdwa v60, v7, v96 dst_sel:DWORD dst_unused:UNUSED_PAD src0_sel:WORD_1 src1_sel:DWORD
	s_waitcnt lgkmcnt(0)
	v_lshrrev_b32_e32 v97, 16, v86
	v_fma_f16 v60, v7, v53, v60
	v_mul_f16_sdwa v53, v7, v53 dst_sel:DWORD dst_unused:UNUSED_PAD src0_sel:WORD_1 src1_sel:DWORD
	v_lshrrev_b32_e32 v98, 16, v57
	v_fma_f16 v7, v7, v96, -v53
	v_mul_f16_sdwa v53, v31, v97 dst_sel:DWORD dst_unused:UNUSED_PAD src0_sel:WORD_1 src1_sel:DWORD
	v_mul_f16_sdwa v84, v31, v86 dst_sel:DWORD dst_unused:UNUSED_PAD src0_sel:WORD_1 src1_sel:DWORD
	v_fma_f16 v53, v31, v86, v53
	v_fma_f16 v31, v31, v97, -v84
	v_mul_f16_sdwa v84, v32, v98 dst_sel:DWORD dst_unused:UNUSED_PAD src0_sel:WORD_1 src1_sel:DWORD
	v_lshrrev_b32_e32 v99, 16, v59
	v_fma_f16 v84, v32, v57, v84
	v_mul_f16_sdwa v57, v32, v57 dst_sel:DWORD dst_unused:UNUSED_PAD src0_sel:WORD_1 src1_sel:DWORD
	v_fma_f16 v32, v32, v98, -v57
	v_mul_f16_sdwa v57, v8, v99 dst_sel:DWORD dst_unused:UNUSED_PAD src0_sel:WORD_1 src1_sel:DWORD
	v_lshrrev_b32_e32 v101, 16, v50
	v_fma_f16 v57, v8, v59, v57
	v_mul_f16_sdwa v59, v8, v59 dst_sel:DWORD dst_unused:UNUSED_PAD src0_sel:WORD_1 src1_sel:DWORD
	v_fma_f16 v8, v8, v99, -v59
	v_mul_f16_sdwa v59, v9, v101 dst_sel:DWORD dst_unused:UNUSED_PAD src0_sel:WORD_1 src1_sel:DWORD
	ds_read_b32 v100, v61 offset:4480
	v_lshrrev_b32_e32 v102, 16, v85
	v_fma_f16 v59, v9, v50, v59
	v_mul_f16_sdwa v50, v9, v50 dst_sel:DWORD dst_unused:UNUSED_PAD src0_sel:WORD_1 src1_sel:DWORD
	v_fma_f16 v9, v9, v101, -v50
	v_mul_f16_sdwa v50, v10, v102 dst_sel:DWORD dst_unused:UNUSED_PAD src0_sel:WORD_1 src1_sel:DWORD
	v_lshrrev_b32_e32 v103, 16, v54
	v_fma_f16 v50, v10, v85, v50
	v_mul_f16_sdwa v85, v10, v85 dst_sel:DWORD dst_unused:UNUSED_PAD src0_sel:WORD_1 src1_sel:DWORD
	v_fma_f16 v10, v10, v102, -v85
	v_mul_f16_sdwa v85, v11, v103 dst_sel:DWORD dst_unused:UNUSED_PAD src0_sel:WORD_1 src1_sel:DWORD
	v_lshrrev_b32_e32 v104, 16, v87
	v_fma_f16 v85, v11, v54, v85
	v_mul_f16_sdwa v54, v11, v54 dst_sel:DWORD dst_unused:UNUSED_PAD src0_sel:WORD_1 src1_sel:DWORD
	s_waitcnt lgkmcnt(0)
	v_lshrrev_b32_e32 v105, 16, v100
	v_fma_f16 v11, v11, v103, -v54
	v_mul_f16_sdwa v54, v33, v104 dst_sel:DWORD dst_unused:UNUSED_PAD src0_sel:WORD_1 src1_sel:DWORD
	v_mul_f16_sdwa v86, v33, v87 dst_sel:DWORD dst_unused:UNUSED_PAD src0_sel:WORD_1 src1_sel:DWORD
	v_fma_f16 v54, v33, v87, v54
	v_fma_f16 v33, v33, v104, -v86
	v_mul_f16_sdwa v86, v34, v105 dst_sel:DWORD dst_unused:UNUSED_PAD src0_sel:WORD_1 src1_sel:DWORD
	v_mul_f16_sdwa v87, v34, v100 dst_sel:DWORD dst_unused:UNUSED_PAD src0_sel:WORD_1 src1_sel:DWORD
	v_fma_f16 v86, v34, v100, v86
	v_fma_f16 v34, v34, v105, -v87
	v_add_f16_e32 v87, v106, v55
	v_add_f16_e32 v88, v0, v30
	v_sub_f16_e32 v0, v0, v30
	v_add_f16_e32 v30, v28, v52
	v_add_f16_e32 v89, v1, v29
	v_sub_f16_e32 v55, v106, v55
	v_sub_f16_e32 v28, v28, v52
	;; [unrolled: 1-line block ×3, first 2 shown]
	v_add_f16_e32 v29, v46, v51
	v_add_f16_e32 v52, v2, v3
	v_sub_f16_e32 v46, v51, v46
	v_sub_f16_e32 v2, v3, v2
	v_add_f16_e32 v3, v30, v87
	v_add_f16_e32 v51, v89, v88
	v_sub_f16_e32 v90, v30, v87
	v_sub_f16_e32 v91, v89, v88
	;; [unrolled: 1-line block ×6, first 2 shown]
	v_add_f16_e32 v92, v46, v28
	v_add_f16_e32 v93, v2, v1
	v_sub_f16_e32 v94, v46, v28
	v_sub_f16_e32 v95, v2, v1
	;; [unrolled: 1-line block ×4, first 2 shown]
	v_add_f16_e32 v3, v29, v3
	v_add_f16_e32 v29, v52, v51
	v_sub_f16_e32 v46, v55, v46
	v_sub_f16_e32 v2, v0, v2
	v_add_f16_e32 v51, v92, v55
	v_add_f16_e32 v0, v93, v0
	;; [unrolled: 1-line block ×3, first 2 shown]
	v_add_f16_sdwa v48, v48, v29 dst_sel:DWORD dst_unused:UNUSED_PAD src0_sel:WORD_1 src1_sel:DWORD
	v_mul_f16_e32 v55, 0x3a52, v87
	v_mul_f16_e32 v87, 0x3a52, v88
	s_movk_i32 s3, 0x2b26
	v_mul_f16_e32 v88, 0x2b26, v30
	v_mul_f16_e32 v92, 0x2b26, v89
	;; [unrolled: 1-line block ×4, first 2 shown]
	s_mov_b32 s2, 0xbb00
	v_mul_f16_e32 v95, 0xbb00, v28
	v_mul_f16_e32 v96, 0xbb00, v1
	s_mov_b32 s4, 0xbcab
	s_movk_i32 s5, 0x39e0
	s_mov_b32 s13, 0xb9e0
	s_mov_b32 s14, 0xb574
	s_movk_i32 s15, 0x3574
	v_fma_f16 v3, v3, s4, v52
	v_fma_f16 v29, v29, s4, v48
	;; [unrolled: 1-line block ×4, first 2 shown]
	v_fma_f16 v88, v90, s5, -v88
	v_fma_f16 v92, v91, s5, -v92
	;; [unrolled: 1-line block ×4, first 2 shown]
	v_fma_f16 v90, v46, s14, v93
	v_fma_f16 v91, v2, s14, v94
	v_fma_f16 v1, v1, s2, -v94
	v_fma_f16 v46, v46, s15, -v95
	;; [unrolled: 1-line block ×3, first 2 shown]
	s_mov_b32 s12, 0xb70e
	v_fma_f16 v28, v28, s2, -v93
	v_add_f16_e32 v30, v30, v3
	v_add_f16_e32 v89, v89, v29
	;; [unrolled: 1-line block ×6, first 2 shown]
	v_fma_f16 v55, v51, s12, v90
	v_fma_f16 v87, v0, s12, v91
	;; [unrolled: 1-line block ×6, first 2 shown]
	v_add_f16_e32 v2, v87, v30
	v_sub_f16_e32 v51, v89, v55
	v_add_f16_e32 v90, v0, v3
	v_sub_f16_e32 v91, v29, v46
	v_sub_f16_e32 v0, v3, v0
	v_add_f16_e32 v3, v46, v29
	v_sub_f16_e32 v29, v30, v87
	v_add_f16_e32 v30, v55, v89
	v_add_f16_e32 v46, v56, v84
	;; [unrolled: 1-line block ×3, first 2 shown]
	v_sub_f16_e32 v56, v56, v84
	v_sub_f16_e32 v4, v4, v32
	v_add_f16_e32 v32, v58, v53
	v_add_f16_e32 v84, v5, v31
	v_sub_f16_e32 v53, v58, v53
	v_sub_f16_e32 v5, v5, v31
	v_add_f16_e32 v31, v47, v60
	v_add_f16_e32 v58, v6, v7
	;; [unrolled: 4-line block ×3, first 2 shown]
	v_sub_f16_e32 v93, v88, v1
	v_add_f16_e32 v94, v28, v92
	v_add_f16_e32 v1, v1, v88
	v_sub_f16_e32 v28, v92, v28
	v_sub_f16_e32 v87, v32, v46
	;; [unrolled: 1-line block ×7, first 2 shown]
	v_add_f16_e32 v89, v47, v53
	v_add_f16_e32 v92, v6, v5
	v_sub_f16_e32 v95, v47, v53
	v_sub_f16_e32 v96, v6, v5
	;; [unrolled: 1-line block ×4, first 2 shown]
	v_add_f16_e32 v7, v31, v7
	v_add_f16_e32 v31, v58, v60
	v_sub_f16_e32 v47, v56, v47
	v_sub_f16_e32 v6, v4, v6
	v_add_f16_e32 v56, v89, v56
	v_add_f16_e32 v4, v92, v4
	;; [unrolled: 1-line block ×3, first 2 shown]
	v_add_f16_sdwa v49, v49, v31 dst_sel:DWORD dst_unused:UNUSED_PAD src0_sel:WORD_1 src1_sel:DWORD
	v_mul_f16_e32 v46, 0x3a52, v46
	v_mul_f16_e32 v55, 0x3a52, v55
	;; [unrolled: 1-line block ×8, first 2 shown]
	v_fma_f16 v7, v7, s4, v58
	v_fma_f16 v31, v31, s4, v49
	;; [unrolled: 1-line block ×4, first 2 shown]
	v_fma_f16 v60, v87, s5, -v60
	v_fma_f16 v89, v88, s5, -v89
	;; [unrolled: 1-line block ×4, first 2 shown]
	v_fma_f16 v87, v47, s14, v92
	v_fma_f16 v88, v6, s14, v95
	v_fma_f16 v5, v5, s2, -v95
	v_fma_f16 v47, v47, s15, -v96
	;; [unrolled: 1-line block ×4, first 2 shown]
	v_add_f16_e32 v32, v32, v7
	v_add_f16_e32 v84, v84, v31
	;; [unrolled: 1-line block ×6, first 2 shown]
	v_fma_f16 v46, v56, s12, v87
	v_fma_f16 v55, v4, s12, v88
	v_fma_f16 v5, v4, s12, v5
	v_fma_f16 v47, v56, s12, v47
	v_fma_f16 v4, v4, s12, v6
	v_fma_f16 v53, v56, s12, v53
	v_add_f16_e32 v6, v55, v32
	v_sub_f16_e32 v56, v84, v46
	v_add_f16_e32 v87, v4, v7
	v_sub_f16_e32 v88, v31, v47
	v_sub_f16_e32 v4, v7, v4
	v_add_f16_e32 v7, v47, v31
	v_sub_f16_e32 v31, v32, v55
	v_add_f16_e32 v32, v46, v84
	v_add_f16_e32 v46, v57, v86
	;; [unrolled: 1-line block ×3, first 2 shown]
	v_sub_f16_e32 v55, v57, v86
	v_sub_f16_e32 v8, v8, v34
	v_add_f16_e32 v34, v59, v54
	v_add_f16_e32 v57, v9, v33
	v_sub_f16_e32 v92, v60, v5
	v_add_f16_e32 v5, v5, v60
	v_sub_f16_e32 v54, v59, v54
	v_sub_f16_e32 v9, v9, v33
	v_add_f16_e32 v33, v50, v85
	v_add_f16_e32 v59, v10, v11
	v_sub_f16_e32 v50, v85, v50
	v_sub_f16_e32 v10, v11, v10
	v_add_f16_e32 v11, v34, v46
	v_add_f16_e32 v60, v57, v47
	;; [unrolled: 1-line block ×3, first 2 shown]
	v_sub_f16_e32 v53, v89, v53
	v_sub_f16_e32 v84, v34, v46
	;; [unrolled: 1-line block ×7, first 2 shown]
	v_add_f16_e32 v86, v50, v54
	v_add_f16_e32 v89, v10, v9
	v_sub_f16_e32 v96, v50, v54
	v_sub_f16_e32 v97, v10, v9
	;; [unrolled: 1-line block ×4, first 2 shown]
	v_add_f16_e32 v11, v33, v11
	v_add_f16_e32 v33, v59, v60
	v_sub_f16_e32 v50, v55, v50
	v_sub_f16_e32 v10, v8, v10
	v_add_f16_e32 v55, v86, v55
	v_add_f16_e32 v8, v89, v8
	;; [unrolled: 1-line block ×3, first 2 shown]
	v_add_f16_sdwa v27, v27, v33 dst_sel:DWORD dst_unused:UNUSED_PAD src0_sel:WORD_1 src1_sel:DWORD
	v_mul_f16_e32 v46, 0x3a52, v46
	v_mul_f16_e32 v47, 0x3a52, v47
	;; [unrolled: 1-line block ×8, first 2 shown]
	v_fma_f16 v11, v11, s4, v59
	v_fma_f16 v33, v33, s4, v27
	;; [unrolled: 1-line block ×4, first 2 shown]
	v_fma_f16 v60, v84, s5, -v60
	v_fma_f16 v86, v85, s5, -v86
	v_fma_f16 v46, v84, s13, -v46
	v_fma_f16 v47, v85, s13, -v47
	v_fma_f16 v84, v50, s14, v89
	v_fma_f16 v85, v10, s14, v96
	v_fma_f16 v9, v9, s2, -v96
	v_fma_f16 v50, v50, s15, -v97
	;; [unrolled: 1-line block ×4, first 2 shown]
	v_add_f16_e32 v34, v34, v11
	v_add_f16_e32 v57, v57, v33
	;; [unrolled: 1-line block ×6, first 2 shown]
	v_fma_f16 v46, v55, s12, v84
	v_fma_f16 v47, v8, s12, v85
	v_fma_f16 v9, v8, s12, v9
	v_fma_f16 v50, v55, s12, v50
	v_fma_f16 v8, v8, s12, v10
	v_pack_b32_f16 v1, v1, v28
	v_pack_b32_f16 v0, v0, v3
	v_fma_f16 v54, v55, s12, v54
	v_add_f16_e32 v10, v47, v34
	v_sub_f16_e32 v55, v57, v46
	v_add_f16_e32 v84, v8, v11
	v_sub_f16_e32 v85, v33, v50
	v_sub_f16_e32 v8, v11, v8
	v_add_f16_e32 v11, v50, v33
	v_sub_f16_e32 v33, v34, v47
	v_add_f16_e32 v34, v46, v57
	s_waitcnt lgkmcnt(0)
	; wave barrier
	v_pack_b32_f16 v46, v52, v48
	v_pack_b32_f16 v2, v2, v51
	ds_write2_b32 v127, v1, v0 offset0:96 offset1:120
	v_pack_b32_f16 v0, v29, v30
	ds_write2_b32 v127, v46, v2 offset1:24
	v_pack_b32_f16 v2, v90, v91
	v_pack_b32_f16 v46, v93, v94
	ds_write_b32 v127, v0 offset:576
	v_pack_b32_f16 v0, v58, v49
	v_pack_b32_f16 v1, v6, v56
	ds_write2_b32 v127, v2, v46 offset0:48 offset1:72
	ds_write2_b32 v128, v0, v1 offset1:24
	v_pack_b32_f16 v0, v87, v88
	v_pack_b32_f16 v1, v92, v95
	ds_write2_b32 v128, v0, v1 offset0:48 offset1:72
	v_pack_b32_f16 v0, v5, v53
	v_pack_b32_f16 v1, v4, v7
	ds_write2_b32 v128, v0, v1 offset0:96 offset1:120
	v_pack_b32_f16 v0, v31, v32
	v_sub_f16_e32 v89, v60, v9
	v_add_f16_e32 v96, v54, v86
	ds_write_b32 v128, v0 offset:576
	v_pack_b32_f16 v0, v59, v27
	v_pack_b32_f16 v1, v10, v55
	v_add_f16_e32 v9, v9, v60
	v_sub_f16_e32 v54, v86, v54
	ds_write2_b32 v129, v0, v1 offset1:24
	v_pack_b32_f16 v0, v84, v85
	v_pack_b32_f16 v1, v89, v96
	ds_write2_b32 v129, v0, v1 offset0:48 offset1:72
	v_pack_b32_f16 v0, v9, v54
	v_pack_b32_f16 v1, v8, v11
	ds_write2_b32 v129, v0, v1 offset0:96 offset1:120
	v_pack_b32_f16 v0, v33, v34
	ds_write_b32 v129, v0 offset:576
	s_waitcnt lgkmcnt(0)
	; wave barrier
	s_waitcnt lgkmcnt(0)
	ds_read2_b32 v[0:1], v61 offset0:112 offset1:168
	ds_read2_b32 v[2:3], v41 offset0:80 offset1:136
	ds_read2_b32 v[4:5], v61 offset1:56
	ds_read2_b32 v[6:7], v41 offset0:192 offset1:248
	ds_read2_b32 v[8:9], v44 offset0:160 offset1:216
	s_waitcnt lgkmcnt(4)
	v_lshrrev_b32_e32 v46, 16, v1
	v_mul_f16_sdwa v87, v12, v46 dst_sel:DWORD dst_unused:UNUSED_PAD src0_sel:WORD_1 src1_sel:DWORD
	s_waitcnt lgkmcnt(3)
	v_lshrrev_b32_e32 v47, 16, v2
	v_fma_f16 v87, v12, v1, v87
	v_mul_f16_sdwa v1, v12, v1 dst_sel:DWORD dst_unused:UNUSED_PAD src0_sel:WORD_1 src1_sel:DWORD
	ds_read2_b32 v[10:11], v42 offset0:16 offset1:72
	v_fma_f16 v1, v12, v46, -v1
	v_mul_f16_sdwa v12, v13, v47 dst_sel:DWORD dst_unused:UNUSED_PAD src0_sel:WORD_1 src1_sel:DWORD
	s_waitcnt lgkmcnt(2)
	v_lshrrev_b32_e32 v48, 16, v7
	v_fma_f16 v12, v13, v2, v12
	v_mul_f16_sdwa v2, v13, v2 dst_sel:DWORD dst_unused:UNUSED_PAD src0_sel:WORD_1 src1_sel:DWORD
	ds_read2_b32 v[27:28], v45 offset0:112 offset1:168
	v_fma_f16 v2, v13, v47, -v2
	;; [unrolled: 7-line block ×3, first 2 shown]
	v_mul_f16_sdwa v14, v15, v45 dst_sel:DWORD dst_unused:UNUSED_PAD src0_sel:WORD_1 src1_sel:DWORD
	s_waitcnt lgkmcnt(2)
	v_lshrrev_b32_e32 v49, 16, v11
	v_fma_f16 v14, v15, v8, v14
	v_mul_f16_sdwa v8, v15, v8 dst_sel:DWORD dst_unused:UNUSED_PAD src0_sel:WORD_1 src1_sel:DWORD
	v_fma_f16 v8, v15, v45, -v8
	v_mul_f16_sdwa v15, v35, v49 dst_sel:DWORD dst_unused:UNUSED_PAD src0_sel:WORD_1 src1_sel:DWORD
	s_waitcnt lgkmcnt(1)
	v_lshrrev_b32_e32 v50, 16, v27
	v_fma_f16 v15, v35, v11, v15
	v_mul_f16_sdwa v11, v35, v11 dst_sel:DWORD dst_unused:UNUSED_PAD src0_sel:WORD_1 src1_sel:DWORD
	ds_read2_b32 v[31:32], v44 offset0:48 offset1:104
	v_fma_f16 v11, v35, v49, -v11
	v_mul_f16_sdwa v35, v36, v50 dst_sel:DWORD dst_unused:UNUSED_PAD src0_sel:WORD_1 src1_sel:DWORD
	s_waitcnt lgkmcnt(1)
	v_lshrrev_b32_e32 v51, 16, v29
	v_fma_f16 v35, v36, v27, v35
	v_mul_f16_sdwa v27, v36, v27 dst_sel:DWORD dst_unused:UNUSED_PAD src0_sel:WORD_1 src1_sel:DWORD
	v_fma_f16 v27, v36, v50, -v27
	v_mul_f16_sdwa v36, v16, v51 dst_sel:DWORD dst_unused:UNUSED_PAD src0_sel:WORD_1 src1_sel:DWORD
	v_lshrrev_b32_e32 v52, 16, v3
	v_fma_f16 v36, v16, v29, v36
	v_mul_f16_sdwa v29, v16, v29 dst_sel:DWORD dst_unused:UNUSED_PAD src0_sel:WORD_1 src1_sel:DWORD
	ds_read2_b32 v[33:34], v42 offset0:128 offset1:184
	v_fma_f16 v16, v16, v51, -v29
	v_mul_f16_sdwa v29, v17, v52 dst_sel:DWORD dst_unused:UNUSED_PAD src0_sel:WORD_1 src1_sel:DWORD
	s_waitcnt lgkmcnt(1)
	v_lshrrev_b32_e32 v53, 16, v31
	v_fma_f16 v29, v17, v3, v29
	v_mul_f16_sdwa v3, v17, v3 dst_sel:DWORD dst_unused:UNUSED_PAD src0_sel:WORD_1 src1_sel:DWORD
	v_fma_f16 v3, v17, v52, -v3
	v_mul_f16_sdwa v17, v18, v53 dst_sel:DWORD dst_unused:UNUSED_PAD src0_sel:WORD_1 src1_sel:DWORD
	v_lshrrev_b32_e32 v54, 16, v9
	v_fma_f16 v17, v18, v31, v17
	v_mul_f16_sdwa v31, v18, v31 dst_sel:DWORD dst_unused:UNUSED_PAD src0_sel:WORD_1 src1_sel:DWORD
	v_fma_f16 v18, v18, v53, -v31
	v_mul_f16_sdwa v31, v19, v54 dst_sel:DWORD dst_unused:UNUSED_PAD src0_sel:WORD_1 src1_sel:DWORD
	s_waitcnt lgkmcnt(0)
	v_lshrrev_b32_e32 v55, 16, v33
	v_fma_f16 v31, v19, v9, v31
	v_mul_f16_sdwa v9, v19, v9 dst_sel:DWORD dst_unused:UNUSED_PAD src0_sel:WORD_1 src1_sel:DWORD
	v_fma_f16 v9, v19, v54, -v9
	v_mul_f16_sdwa v19, v37, v55 dst_sel:DWORD dst_unused:UNUSED_PAD src0_sel:WORD_1 src1_sel:DWORD
	v_lshrrev_b32_e32 v56, 16, v28
	v_fma_f16 v19, v37, v33, v19
	v_mul_f16_sdwa v33, v37, v33 dst_sel:DWORD dst_unused:UNUSED_PAD src0_sel:WORD_1 src1_sel:DWORD
	v_fma_f16 v33, v37, v55, -v33
	v_mul_f16_sdwa v37, v38, v56 dst_sel:DWORD dst_unused:UNUSED_PAD src0_sel:WORD_1 src1_sel:DWORD
	;; [unrolled: 5-line block ×4, first 2 shown]
	v_lshrrev_b32_e32 v60, 16, v32
	v_fma_f16 v30, v21, v6, v30
	v_mul_f16_sdwa v6, v21, v6 dst_sel:DWORD dst_unused:UNUSED_PAD src0_sel:WORD_1 src1_sel:DWORD
	ds_read_b32 v58, v61 offset:4480
	v_fma_f16 v6, v21, v59, -v6
	v_mul_f16_sdwa v21, v22, v60 dst_sel:DWORD dst_unused:UNUSED_PAD src0_sel:WORD_1 src1_sel:DWORD
	v_lshrrev_b32_e32 v84, 16, v10
	v_fma_f16 v21, v22, v32, v21
	v_mul_f16_sdwa v32, v22, v32 dst_sel:DWORD dst_unused:UNUSED_PAD src0_sel:WORD_1 src1_sel:DWORD
	v_fma_f16 v22, v22, v60, -v32
	v_mul_f16_sdwa v32, v23, v84 dst_sel:DWORD dst_unused:UNUSED_PAD src0_sel:WORD_1 src1_sel:DWORD
	v_lshrrev_b32_e32 v85, 16, v34
	v_fma_f16 v32, v23, v10, v32
	v_mul_f16_sdwa v10, v23, v10 dst_sel:DWORD dst_unused:UNUSED_PAD src0_sel:WORD_1 src1_sel:DWORD
	v_fma_f16 v10, v23, v84, -v10
	v_mul_f16_sdwa v23, v39, v85 dst_sel:DWORD dst_unused:UNUSED_PAD src0_sel:WORD_1 src1_sel:DWORD
	s_waitcnt lgkmcnt(0)
	v_lshrrev_b32_e32 v86, 16, v58
	v_fma_f16 v23, v39, v34, v23
	v_mul_f16_sdwa v34, v39, v34 dst_sel:DWORD dst_unused:UNUSED_PAD src0_sel:WORD_1 src1_sel:DWORD
	v_fma_f16 v34, v39, v85, -v34
	v_mul_f16_sdwa v39, v40, v86 dst_sel:DWORD dst_unused:UNUSED_PAD src0_sel:WORD_1 src1_sel:DWORD
	v_mul_f16_sdwa v45, v40, v58 dst_sel:DWORD dst_unused:UNUSED_PAD src0_sel:WORD_1 src1_sel:DWORD
	v_fma_f16 v39, v40, v58, v39
	v_fma_f16 v40, v40, v86, -v45
	v_add_f16_e32 v45, v87, v35
	v_add_f16_e32 v46, v1, v27
	v_sub_f16_e32 v1, v1, v27
	v_add_f16_e32 v27, v12, v15
	v_add_f16_e32 v47, v2, v11
	v_sub_f16_e32 v35, v87, v35
	v_sub_f16_e32 v12, v12, v15
	;; [unrolled: 1-line block ×3, first 2 shown]
	v_add_f16_e32 v11, v13, v14
	v_add_f16_e32 v15, v7, v8
	v_sub_f16_e32 v13, v14, v13
	v_sub_f16_e32 v7, v8, v7
	v_add_f16_e32 v8, v27, v45
	v_add_f16_e32 v14, v47, v46
	v_sub_f16_e32 v48, v27, v45
	v_sub_f16_e32 v49, v47, v46
	;; [unrolled: 1-line block ×6, first 2 shown]
	v_add_f16_e32 v50, v13, v12
	v_add_f16_e32 v51, v7, v2
	v_sub_f16_e32 v52, v13, v12
	v_sub_f16_e32 v53, v7, v2
	;; [unrolled: 1-line block ×4, first 2 shown]
	v_add_f16_e32 v8, v11, v8
	v_add_f16_e32 v11, v15, v14
	v_sub_f16_e32 v13, v35, v13
	v_sub_f16_e32 v7, v1, v7
	v_add_f16_e32 v14, v50, v35
	v_add_f16_e32 v1, v51, v1
	;; [unrolled: 1-line block ×3, first 2 shown]
	v_add_f16_sdwa v4, v4, v11 dst_sel:DWORD dst_unused:UNUSED_PAD src0_sel:WORD_1 src1_sel:DWORD
	v_mul_f16_e32 v35, 0x3a52, v45
	v_mul_f16_e32 v45, 0x3a52, v46
	;; [unrolled: 1-line block ×8, first 2 shown]
	v_fma_f16 v8, v8, s4, v15
	v_fma_f16 v11, v11, s4, v4
	;; [unrolled: 1-line block ×4, first 2 shown]
	v_fma_f16 v46, v48, s5, -v46
	v_fma_f16 v50, v49, s5, -v50
	;; [unrolled: 1-line block ×4, first 2 shown]
	v_fma_f16 v48, v13, s14, v51
	v_fma_f16 v49, v7, s14, v52
	v_fma_f16 v2, v2, s2, -v52
	v_fma_f16 v13, v13, s15, -v53
	;; [unrolled: 1-line block ×4, first 2 shown]
	v_add_f16_e32 v27, v27, v8
	v_add_f16_e32 v47, v47, v11
	;; [unrolled: 1-line block ×6, first 2 shown]
	v_fma_f16 v35, v14, s12, v48
	v_fma_f16 v45, v1, s12, v49
	;; [unrolled: 1-line block ×6, first 2 shown]
	v_add_f16_e32 v7, v45, v27
	v_sub_f16_e32 v14, v47, v35
	v_add_f16_e32 v48, v1, v8
	v_sub_f16_e32 v49, v11, v13
	v_sub_f16_e32 v1, v8, v1
	v_add_f16_e32 v8, v13, v11
	v_sub_f16_e32 v11, v27, v45
	v_add_f16_e32 v13, v35, v47
	v_add_f16_e32 v27, v36, v37
	;; [unrolled: 1-line block ×3, first 2 shown]
	v_sub_f16_e32 v36, v36, v37
	v_sub_f16_e32 v16, v16, v28
	v_add_f16_e32 v28, v29, v19
	v_add_f16_e32 v37, v3, v33
	v_sub_f16_e32 v19, v29, v19
	v_sub_f16_e32 v3, v3, v33
	v_add_f16_e32 v29, v17, v31
	v_add_f16_e32 v33, v18, v9
	;; [unrolled: 4-line block ×3, first 2 shown]
	v_sub_f16_e32 v51, v46, v2
	v_add_f16_e32 v52, v12, v50
	v_add_f16_e32 v2, v2, v46
	v_sub_f16_e32 v12, v50, v12
	v_sub_f16_e32 v45, v28, v27
	;; [unrolled: 1-line block ×7, first 2 shown]
	v_add_f16_e32 v47, v17, v19
	v_add_f16_e32 v50, v9, v3
	v_sub_f16_e32 v53, v17, v19
	v_sub_f16_e32 v54, v9, v3
	;; [unrolled: 1-line block ×4, first 2 shown]
	v_add_f16_e32 v18, v29, v18
	v_add_f16_e32 v29, v33, v31
	v_sub_f16_e32 v17, v36, v17
	v_sub_f16_e32 v9, v16, v9
	v_add_f16_e32 v31, v47, v36
	v_add_f16_e32 v16, v50, v16
	;; [unrolled: 1-line block ×3, first 2 shown]
	v_add_f16_sdwa v5, v5, v29 dst_sel:DWORD dst_unused:UNUSED_PAD src0_sel:WORD_1 src1_sel:DWORD
	v_mul_f16_e32 v27, 0x3a52, v27
	v_mul_f16_e32 v35, 0x3a52, v35
	;; [unrolled: 1-line block ×8, first 2 shown]
	v_fma_f16 v18, v18, s4, v33
	v_fma_f16 v29, v29, s4, v5
	v_fma_f16 v28, v28, s3, v27
	v_fma_f16 v37, v37, s3, v35
	v_fma_f16 v36, v45, s5, -v36
	v_fma_f16 v47, v46, s5, -v47
	;; [unrolled: 1-line block ×4, first 2 shown]
	v_fma_f16 v45, v17, s14, v50
	v_fma_f16 v46, v9, s14, v53
	v_fma_f16 v3, v3, s2, -v53
	v_fma_f16 v17, v17, s15, -v54
	;; [unrolled: 1-line block ×4, first 2 shown]
	v_add_f16_e32 v28, v28, v18
	v_add_f16_e32 v37, v37, v29
	;; [unrolled: 1-line block ×6, first 2 shown]
	v_fma_f16 v29, v31, s12, v45
	v_fma_f16 v35, v16, s12, v46
	;; [unrolled: 1-line block ×6, first 2 shown]
	v_add_f16_e32 v16, v35, v28
	v_sub_f16_e32 v31, v37, v29
	v_add_f16_e32 v45, v9, v18
	v_sub_f16_e32 v46, v27, v17
	v_sub_f16_e32 v50, v36, v3
	v_add_f16_e32 v3, v3, v36
	v_sub_f16_e32 v9, v18, v9
	v_add_f16_e32 v17, v17, v27
	;; [unrolled: 2-line block ×3, first 2 shown]
	v_add_f16_e32 v28, v38, v39
	v_add_f16_e32 v29, v20, v40
	;; [unrolled: 1-line block ×4, first 2 shown]
	v_sub_f16_e32 v23, v30, v23
	v_sub_f16_e32 v6, v6, v34
	v_add_f16_e32 v30, v21, v32
	v_add_f16_e32 v34, v22, v10
	v_sub_f16_e32 v21, v32, v21
	v_sub_f16_e32 v10, v10, v22
	v_add_f16_e32 v22, v36, v28
	v_add_f16_e32 v32, v37, v29
	v_pack_b32_f16 v7, v7, v14
	v_pack_b32_f16 v1, v1, v8
	v_add_f16_e32 v53, v19, v47
	v_sub_f16_e32 v19, v47, v19
	v_sub_f16_e32 v35, v38, v39
	;; [unrolled: 1-line block ×9, first 2 shown]
	v_add_f16_e32 v40, v21, v23
	v_add_f16_e32 v47, v10, v6
	v_sub_f16_e32 v54, v21, v23
	v_sub_f16_e32 v55, v10, v6
	v_add_f16_e32 v22, v30, v22
	v_add_f16_e32 v30, v34, v32
	ds_write_b32 v61, v7 offset:672
	v_pack_b32_f16 v7, v48, v49
	v_pack_b32_f16 v2, v2, v12
	ds_write_b32 v61, v1 offset:3360
	v_pack_b32_f16 v1, v11, v13
	v_sub_f16_e32 v21, v35, v21
	v_sub_f16_e32 v10, v20, v10
	;; [unrolled: 1-line block ×4, first 2 shown]
	v_add_f16_e32 v32, v40, v35
	v_add_f16_e32 v20, v47, v20
	;; [unrolled: 1-line block ×3, first 2 shown]
	v_add_f16_sdwa v0, v0, v30 dst_sel:DWORD dst_unused:UNUSED_PAD src0_sel:WORD_1 src1_sel:DWORD
	v_mul_f16_e32 v28, 0x3a52, v28
	v_mul_f16_e32 v29, 0x3a52, v29
	;; [unrolled: 1-line block ×6, first 2 shown]
	v_pack_b32_f16 v4, v15, v4
	ds_write_b32 v61, v7 offset:1344
	v_pack_b32_f16 v7, v51, v52
	ds_write_b32 v61, v2 offset:2688
	ds_write_b32 v61, v1 offset:4032
	v_pack_b32_f16 v1, v33, v5
	v_pack_b32_f16 v2, v45, v46
	v_mul_f16_e32 v55, 0xbb00, v23
	v_mul_f16_e32 v56, 0xbb00, v6
	v_fma_f16 v22, v22, s4, v34
	v_fma_f16 v30, v30, s4, v0
	;; [unrolled: 1-line block ×4, first 2 shown]
	v_fma_f16 v35, v38, s5, -v35
	v_fma_f16 v40, v39, s5, -v40
	;; [unrolled: 1-line block ×4, first 2 shown]
	v_fma_f16 v38, v21, s14, v47
	v_fma_f16 v39, v10, s14, v54
	ds_write_b32 v61, v7 offset:2016
	ds_write2_b32 v61, v4, v1 offset1:56
	ds_write_b32 v61, v2 offset:1568
	v_pack_b32_f16 v2, v50, v53
	v_fma_f16 v23, v23, s2, -v47
	v_fma_f16 v6, v6, s2, -v54
	;; [unrolled: 1-line block ×4, first 2 shown]
	v_add_f16_e32 v36, v36, v22
	v_add_f16_e32 v37, v37, v30
	;; [unrolled: 1-line block ×6, first 2 shown]
	v_fma_f16 v29, v32, s12, v38
	v_fma_f16 v30, v20, s12, v39
	ds_write_b32 v61, v2 offset:2240
	v_pack_b32_f16 v2, v3, v19
	v_fma_f16 v23, v32, s12, v23
	v_fma_f16 v6, v20, s12, v6
	;; [unrolled: 1-line block ×4, first 2 shown]
	v_add_f16_e32 v20, v30, v36
	v_sub_f16_e32 v32, v37, v29
	ds_write_b32 v61, v2 offset:2912
	v_pack_b32_f16 v2, v9, v17
	v_pack_b32_f16 v0, v34, v0
	v_add_f16_e32 v38, v10, v22
	v_sub_f16_e32 v39, v28, v21
	v_pack_b32_f16 v1, v16, v31
	ds_write_b32 v61, v2 offset:3584
	v_pack_b32_f16 v2, v18, v27
	ds_write_b32 v61, v0 offset:448
	v_pack_b32_f16 v0, v20, v32
	v_sub_f16_e32 v47, v35, v6
	v_add_f16_e32 v54, v23, v40
	ds_write_b32 v61, v2 offset:4256
	ds_write2_b32 v43, v1, v0 offset0:96 offset1:152
	v_pack_b32_f16 v0, v38, v39
	v_add_f16_e32 v6, v6, v35
	v_sub_f16_e32 v23, v40, v23
	ds_write_b32 v61, v0 offset:1792
	v_pack_b32_f16 v0, v47, v54
	v_sub_f16_e32 v10, v22, v10
	v_add_f16_e32 v21, v21, v28
	ds_write_b32 v61, v0 offset:2464
	v_pack_b32_f16 v0, v6, v23
	v_sub_f16_e32 v22, v36, v30
	v_add_f16_e32 v28, v29, v37
	ds_write_b32 v61, v0 offset:3136
	v_pack_b32_f16 v0, v10, v21
	ds_write_b32 v61, v0 offset:3808
	v_pack_b32_f16 v0, v22, v28
	ds_write_b32 v61, v0 offset:4480
	s_waitcnt lgkmcnt(0)
	; wave barrier
	s_waitcnt lgkmcnt(0)
	ds_read2_b32 v[3:4], v61 offset1:56
	s_mov_b32 s12, 0x899406f7
	s_mov_b32 s13, 0x3f4bdd2b
	s_movk_i32 s15, 0x1ff
	s_mov_b32 s14, 0x8000
	s_waitcnt lgkmcnt(0)
	v_lshrrev_b32_e32 v7, 16, v3
	v_mul_f16_sdwa v0, v83, v7 dst_sel:DWORD dst_unused:UNUSED_PAD src0_sel:WORD_1 src1_sel:DWORD
	v_fma_f16 v0, v83, v3, v0
	v_cvt_f32_f16_e32 v2, v0
	v_mad_u64_u32 v[0:1], s[2:3], s10, v26, 0
	s_movk_i32 s10, 0xffe
	v_cvt_f64_f32_e32 v[5:6], v2
	v_mad_u64_u32 v[1:2], s[2:3], s11, v26, v[1:2]
	v_mul_f16_sdwa v3, v83, v3 dst_sel:DWORD dst_unused:UNUSED_PAD src0_sel:WORD_1 src1_sel:DWORD
	v_mul_f64 v[5:6], v[5:6], s[12:13]
	v_fma_f16 v3, v83, v7, -v3
	v_cvt_f32_f16_e32 v3, v3
	s_movk_i32 s11, 0x40f
	v_lshlrev_b64 v[0:1], 2, v[0:1]
	s_movk_i32 s16, 0x1000
	v_and_or_b32 v2, v6, s15, v5
	v_cmp_ne_u32_e32 vcc, 0, v2
	v_cndmask_b32_e64 v2, 0, 1, vcc
	v_lshrrev_b32_e32 v5, 8, v6
	v_bfe_u32 v8, v6, 20, 11
	v_and_or_b32 v5, v5, s10, v2
	v_sub_u32_e32 v9, 0x3f1, v8
	v_or_b32_e32 v2, 0x1000, v5
	v_med3_i32 v9, v9, 0, 13
	v_lshrrev_b32_e32 v10, v9, v2
	v_lshlrev_b32_e32 v9, v9, v10
	v_cmp_ne_u32_e32 vcc, v9, v2
	v_cndmask_b32_e64 v2, 0, 1, vcc
	v_add_u32_e32 v9, 0xfffffc10, v8
	v_or_b32_e32 v2, v10, v2
	v_lshl_or_b32 v8, v9, 12, v5
	v_cmp_gt_i32_e32 vcc, 1, v9
	v_cndmask_b32_e32 v2, v8, v2, vcc
	v_and_b32_e32 v8, 7, v2
	v_cmp_lt_i32_e32 vcc, 5, v8
	v_cmp_eq_u32_e64 s[2:3], 3, v8
	v_cvt_f64_f32_e32 v[7:8], v3
	v_lshrrev_b32_e32 v2, 2, v2
	s_or_b64 vcc, s[2:3], vcc
	v_addc_co_u32_e32 v10, vcc, 0, v2, vcc
	v_mul_f64 v[7:8], v[7:8], s[12:13]
	v_mov_b32_e32 v2, 0x7c00
	v_cmp_gt_i32_e32 vcc, 31, v9
	v_cndmask_b32_e32 v3, v2, v10, vcc
	v_cmp_ne_u32_e32 vcc, 0, v5
	v_cndmask_b32_e64 v5, 0, 1, vcc
	v_lshl_or_b32 v5, v5, 9, v2
	v_cmp_eq_u32_e32 vcc, s11, v9
	v_cndmask_b32_e32 v3, v3, v5, vcc
	v_lshrrev_b32_e32 v5, 16, v6
	v_and_or_b32 v11, v5, s14, v3
	v_and_or_b32 v3, v8, s15, v7
	v_cmp_ne_u32_e32 vcc, 0, v3
	v_cndmask_b32_e64 v3, 0, 1, vcc
	v_lshrrev_b32_e32 v5, 8, v8
	v_bfe_u32 v6, v8, 20, 11
	v_and_or_b32 v3, v5, s10, v3
	v_sub_u32_e32 v7, 0x3f1, v6
	v_or_b32_e32 v5, 0x1000, v3
	v_med3_i32 v7, v7, 0, 13
	v_lshrrev_b32_e32 v9, v7, v5
	v_lshlrev_b32_e32 v7, v7, v9
	v_cmp_ne_u32_e32 vcc, v7, v5
	v_cndmask_b32_e64 v5, 0, 1, vcc
	v_add_u32_e32 v7, 0xfffffc10, v6
	v_or_b32_e32 v5, v9, v5
	v_lshl_or_b32 v6, v7, 12, v3
	v_cmp_gt_i32_e32 vcc, 1, v7
	v_cndmask_b32_e32 v5, v6, v5, vcc
	v_and_b32_e32 v6, 7, v5
	v_cmp_lt_i32_e32 vcc, 5, v6
	v_cmp_eq_u32_e64 s[2:3], 3, v6
	v_lshrrev_b32_e32 v5, 2, v5
	s_or_b64 vcc, s[2:3], vcc
	v_addc_co_u32_e32 v5, vcc, 0, v5, vcc
	v_cmp_gt_i32_e32 vcc, 31, v7
	v_cndmask_b32_e32 v9, v2, v5, vcc
	v_cmp_ne_u32_e32 vcc, 0, v3
	v_cndmask_b32_e64 v3, 0, 1, vcc
	v_lshl_or_b32 v3, v3, 9, v2
	v_cmp_eq_u32_e32 vcc, s11, v7
	v_cndmask_b32_e32 v12, v9, v3, vcc
	ds_read2_b32 v[9:10], v44 offset0:76 offset1:132
	v_mad_u64_u32 v[5:6], s[2:3], s8, v81, 0
	v_lshrrev_b32_e32 v8, 16, v8
	v_and_or_b32 v12, v8, s14, v12
	v_mov_b32_e32 v3, v6
	s_waitcnt lgkmcnt(0)
	v_lshrrev_b32_e32 v13, 16, v9
	v_mad_u64_u32 v[6:7], s[2:3], s9, v81, v[3:4]
	v_mul_f16_sdwa v3, v82, v13 dst_sel:DWORD dst_unused:UNUSED_PAD src0_sel:WORD_1 src1_sel:DWORD
	v_fma_f16 v3, v82, v9, v3
	v_cvt_f32_f16_e32 v3, v3
	v_add_co_u32_e32 v0, vcc, s6, v0
	v_lshlrev_b64 v[5:6], 2, v[5:6]
	v_cvt_f64_f32_e32 v[7:8], v3
	v_mov_b32_e32 v3, s7
	v_addc_co_u32_e32 v3, vcc, v3, v1, vcc
	v_mul_f64 v[7:8], v[7:8], s[12:13]
	v_add_co_u32_e32 v5, vcc, v0, v5
	v_and_b32_e32 v11, 0xffff, v11
	v_addc_co_u32_e32 v6, vcc, v3, v6, vcc
	v_lshl_or_b32 v11, v12, 16, v11
	global_store_dword v[5:6], v11, off
	v_and_or_b32 v1, v8, s15, v7
	v_cmp_ne_u32_e32 vcc, 0, v1
	v_cndmask_b32_e64 v1, 0, 1, vcc
	v_lshrrev_b32_e32 v7, 8, v8
	v_bfe_u32 v11, v8, 20, 11
	v_and_or_b32 v1, v7, s10, v1
	v_sub_u32_e32 v12, 0x3f1, v11
	v_or_b32_e32 v7, 0x1000, v1
	v_med3_i32 v12, v12, 0, 13
	v_lshrrev_b32_e32 v14, v12, v7
	v_lshlrev_b32_e32 v12, v12, v14
	v_cmp_ne_u32_e32 vcc, v12, v7
	v_mul_f16_sdwa v9, v82, v9 dst_sel:DWORD dst_unused:UNUSED_PAD src0_sel:WORD_1 src1_sel:DWORD
	v_cndmask_b32_e64 v7, 0, 1, vcc
	v_fma_f16 v9, v82, v13, -v9
	v_or_b32_e32 v7, v14, v7
	v_add_u32_e32 v14, 0xfffffc10, v11
	v_cvt_f32_f16_e32 v9, v9
	v_lshl_or_b32 v11, v14, 12, v1
	v_cmp_gt_i32_e32 vcc, 1, v14
	v_cndmask_b32_e32 v7, v11, v7, vcc
	v_and_b32_e32 v11, 7, v7
	v_cmp_lt_i32_e32 vcc, 5, v11
	v_cmp_eq_u32_e64 s[2:3], 3, v11
	v_cvt_f64_f32_e32 v[11:12], v9
	v_lshrrev_b32_e32 v7, 2, v7
	s_or_b64 vcc, s[2:3], vcc
	v_addc_co_u32_e32 v7, vcc, 0, v7, vcc
	v_mul_f64 v[11:12], v[11:12], s[12:13]
	v_cmp_gt_i32_e32 vcc, 31, v14
	v_cndmask_b32_e32 v7, v2, v7, vcc
	v_cmp_ne_u32_e32 vcc, 0, v1
	v_cndmask_b32_e64 v1, 0, 1, vcc
	v_lshl_or_b32 v1, v1, 9, v2
	v_cmp_eq_u32_e32 vcc, s11, v14
	v_cndmask_b32_e32 v1, v7, v1, vcc
	v_lshrrev_b32_e32 v7, 16, v8
	v_and_or_b32 v1, v7, s14, v1
	v_and_or_b32 v7, v12, s15, v11
	v_cmp_ne_u32_e32 vcc, 0, v7
	v_cndmask_b32_e64 v7, 0, 1, vcc
	v_lshrrev_b32_e32 v8, 8, v12
	v_bfe_u32 v9, v12, 20, 11
	v_and_or_b32 v7, v8, s10, v7
	v_sub_u32_e32 v11, 0x3f1, v9
	v_or_b32_e32 v8, 0x1000, v7
	v_med3_i32 v11, v11, 0, 13
	v_lshrrev_b32_e32 v13, v11, v8
	v_lshlrev_b32_e32 v11, v11, v13
	v_cmp_ne_u32_e32 vcc, v11, v8
	v_cndmask_b32_e64 v8, 0, 1, vcc
	v_add_u32_e32 v9, 0xfffffc10, v9
	v_or_b32_e32 v8, v13, v8
	v_lshl_or_b32 v11, v9, 12, v7
	v_cmp_gt_i32_e32 vcc, 1, v9
	v_cndmask_b32_e32 v8, v11, v8, vcc
	v_and_b32_e32 v11, 7, v8
	v_cmp_lt_i32_e32 vcc, 5, v11
	v_cmp_eq_u32_e64 s[2:3], 3, v11
	v_lshrrev_b32_e32 v8, 2, v8
	s_or_b64 vcc, s[2:3], vcc
	v_addc_co_u32_e32 v8, vcc, 0, v8, vcc
	v_cmp_gt_i32_e32 vcc, 31, v9
	v_cndmask_b32_e32 v8, v2, v8, vcc
	v_cmp_ne_u32_e32 vcc, 0, v7
	v_cndmask_b32_e64 v7, 0, 1, vcc
	v_lshl_or_b32 v7, v7, 9, v2
	v_cmp_eq_u32_e32 vcc, s11, v9
	v_cndmask_b32_e32 v7, v8, v7, vcc
	v_lshrrev_b32_e32 v8, 16, v12
	v_lshrrev_b32_e32 v11, 16, v4
	v_and_or_b32 v9, v8, s14, v7
	v_mul_f16_sdwa v7, v80, v11 dst_sel:DWORD dst_unused:UNUSED_PAD src0_sel:WORD_1 src1_sel:DWORD
	v_fma_f16 v7, v80, v4, v7
	v_cvt_f32_f16_e32 v7, v7
	s_mul_i32 s2, s9, 0x24c
	s_mul_hi_u32 s3, s8, 0x24c
	s_add_i32 s3, s3, s2
	v_cvt_f64_f32_e32 v[7:8], v7
	s_mul_i32 s2, s8, 0x24c
	v_and_b32_e32 v1, 0xffff, v1
	s_lshl_b64 s[6:7], s[2:3], 2
	v_mul_f64 v[7:8], v[7:8], s[12:13]
	v_lshl_or_b32 v9, v9, 16, v1
	v_mov_b32_e32 v1, s7
	v_add_co_u32_e32 v5, vcc, s6, v5
	v_addc_co_u32_e32 v6, vcc, v6, v1, vcc
	global_store_dword v[5:6], v9, off
	v_and_or_b32 v7, v8, s15, v7
	v_cmp_ne_u32_e32 vcc, 0, v7
	v_cndmask_b32_e64 v7, 0, 1, vcc
	v_lshrrev_b32_e32 v9, 8, v8
	v_bfe_u32 v12, v8, 20, 11
	v_and_or_b32 v7, v9, s10, v7
	v_sub_u32_e32 v13, 0x3f1, v12
	v_or_b32_e32 v9, 0x1000, v7
	v_med3_i32 v13, v13, 0, 13
	v_lshrrev_b32_e32 v14, v13, v9
	v_lshlrev_b32_e32 v13, v13, v14
	v_mul_f16_sdwa v4, v80, v4 dst_sel:DWORD dst_unused:UNUSED_PAD src0_sel:WORD_1 src1_sel:DWORD
	v_cmp_ne_u32_e32 vcc, v13, v9
	v_fma_f16 v4, v80, v11, -v4
	v_cndmask_b32_e64 v9, 0, 1, vcc
	v_add_u32_e32 v13, 0xfffffc10, v12
	v_cvt_f32_f16_e32 v4, v4
	v_or_b32_e32 v9, v14, v9
	v_lshl_or_b32 v12, v13, 12, v7
	v_cmp_gt_i32_e32 vcc, 1, v13
	v_cndmask_b32_e32 v9, v12, v9, vcc
	v_and_b32_e32 v12, 7, v9
	v_cmp_lt_i32_e32 vcc, 5, v12
	v_cmp_eq_u32_e64 s[2:3], 3, v12
	v_cvt_f64_f32_e32 v[11:12], v4
	v_lshrrev_b32_e32 v9, 2, v9
	s_or_b64 vcc, s[2:3], vcc
	v_addc_co_u32_e32 v4, vcc, 0, v9, vcc
	v_mul_f64 v[11:12], v[11:12], s[12:13]
	v_cmp_gt_i32_e32 vcc, 31, v13
	v_cndmask_b32_e32 v4, v2, v4, vcc
	v_cmp_ne_u32_e32 vcc, 0, v7
	v_cndmask_b32_e64 v7, 0, 1, vcc
	v_lshl_or_b32 v7, v7, 9, v2
	v_cmp_eq_u32_e32 vcc, s11, v13
	v_cndmask_b32_e32 v4, v4, v7, vcc
	v_lshrrev_b32_e32 v7, 16, v8
	v_and_or_b32 v4, v7, s14, v4
	v_and_or_b32 v7, v12, s15, v11
	v_cmp_ne_u32_e32 vcc, 0, v7
	v_cndmask_b32_e64 v7, 0, 1, vcc
	v_lshrrev_b32_e32 v8, 8, v12
	v_bfe_u32 v9, v12, 20, 11
	v_and_or_b32 v7, v8, s10, v7
	v_sub_u32_e32 v11, 0x3f1, v9
	v_or_b32_e32 v8, 0x1000, v7
	v_med3_i32 v11, v11, 0, 13
	v_lshrrev_b32_e32 v13, v11, v8
	v_lshlrev_b32_e32 v11, v11, v13
	v_cmp_ne_u32_e32 vcc, v11, v8
	v_cndmask_b32_e64 v8, 0, 1, vcc
	v_add_u32_e32 v9, 0xfffffc10, v9
	v_or_b32_e32 v8, v13, v8
	v_lshl_or_b32 v11, v9, 12, v7
	v_cmp_gt_i32_e32 vcc, 1, v9
	v_cndmask_b32_e32 v8, v11, v8, vcc
	v_and_b32_e32 v11, 7, v8
	v_cmp_lt_i32_e32 vcc, 5, v11
	v_cmp_eq_u32_e64 s[2:3], 3, v11
	v_lshrrev_b32_e32 v8, 2, v8
	s_or_b64 vcc, s[2:3], vcc
	v_addc_co_u32_e32 v8, vcc, 0, v8, vcc
	v_cmp_gt_i32_e32 vcc, 31, v9
	v_cndmask_b32_e32 v8, v2, v8, vcc
	v_cmp_ne_u32_e32 vcc, 0, v7
	v_cndmask_b32_e64 v7, 0, 1, vcc
	v_lshl_or_b32 v7, v7, 9, v2
	v_cmp_eq_u32_e32 vcc, s11, v9
	v_cndmask_b32_e32 v7, v8, v7, vcc
	v_lshrrev_b32_e32 v8, 16, v12
	v_lshrrev_b32_e32 v11, 16, v10
	v_and_or_b32 v9, v8, s14, v7
	v_mul_f16_sdwa v7, v79, v11 dst_sel:DWORD dst_unused:UNUSED_PAD src0_sel:WORD_1 src1_sel:DWORD
	v_fma_f16 v7, v79, v10, v7
	v_cvt_f32_f16_e32 v7, v7
	s_mul_hi_u32 s3, s8, 0xfffffdec
	s_mul_i32 s2, s9, 0xfffffdec
	s_sub_i32 s3, s3, s8
	v_cvt_f64_f32_e32 v[7:8], v7
	s_add_i32 s3, s3, s2
	s_mul_i32 s2, s8, 0xfffffdec
	v_and_b32_e32 v4, 0xffff, v4
	v_mul_f64 v[7:8], v[7:8], s[12:13]
	s_lshl_b64 s[4:5], s[2:3], 2
	v_lshl_or_b32 v9, v9, 16, v4
	v_mov_b32_e32 v4, s5
	v_add_co_u32_e32 v5, vcc, s4, v5
	v_addc_co_u32_e32 v6, vcc, v6, v4, vcc
	v_and_or_b32 v7, v8, s15, v7
	v_cmp_ne_u32_e32 vcc, 0, v7
	global_store_dword v[5:6], v9, off
	v_cndmask_b32_e64 v7, 0, 1, vcc
	v_lshrrev_b32_e32 v9, 8, v8
	v_bfe_u32 v12, v8, 20, 11
	v_and_or_b32 v7, v9, s10, v7
	v_sub_u32_e32 v13, 0x3f1, v12
	v_or_b32_e32 v9, 0x1000, v7
	v_med3_i32 v13, v13, 0, 13
	v_lshrrev_b32_e32 v14, v13, v9
	v_mul_f16_sdwa v10, v79, v10 dst_sel:DWORD dst_unused:UNUSED_PAD src0_sel:WORD_1 src1_sel:DWORD
	v_lshlrev_b32_e32 v13, v13, v14
	v_fma_f16 v10, v79, v11, -v10
	v_cmp_ne_u32_e32 vcc, v13, v9
	v_cvt_f32_f16_e32 v10, v10
	v_cndmask_b32_e64 v9, 0, 1, vcc
	v_add_u32_e32 v12, 0xfffffc10, v12
	v_or_b32_e32 v9, v14, v9
	v_lshl_or_b32 v13, v12, 12, v7
	v_cmp_gt_i32_e32 vcc, 1, v12
	v_cndmask_b32_e32 v9, v13, v9, vcc
	v_and_b32_e32 v13, 7, v9
	v_lshrrev_b32_e32 v11, 2, v9
	v_cvt_f64_f32_e32 v[9:10], v10
	v_cmp_lt_i32_e32 vcc, 5, v13
	v_cmp_eq_u32_e64 s[2:3], 3, v13
	s_or_b64 vcc, s[2:3], vcc
	v_mul_f64 v[9:10], v[9:10], s[12:13]
	v_addc_co_u32_e32 v11, vcc, 0, v11, vcc
	v_cmp_gt_i32_e32 vcc, 31, v12
	v_cndmask_b32_e32 v11, v2, v11, vcc
	v_cmp_ne_u32_e32 vcc, 0, v7
	v_cndmask_b32_e64 v7, 0, 1, vcc
	v_lshl_or_b32 v7, v7, 9, v2
	v_cmp_eq_u32_e32 vcc, s11, v12
	v_cndmask_b32_e32 v7, v11, v7, vcc
	v_lshrrev_b32_e32 v8, 16, v8
	v_and_or_b32 v13, v8, s14, v7
	v_and_or_b32 v7, v10, s15, v9
	v_cmp_ne_u32_e32 vcc, 0, v7
	v_cndmask_b32_e64 v7, 0, 1, vcc
	v_lshrrev_b32_e32 v8, 8, v10
	v_and_or_b32 v9, v8, s10, v7
	v_bfe_u32 v8, v10, 20, 11
	v_sub_u32_e32 v11, 0x3f1, v8
	v_or_b32_e32 v7, 0x1000, v9
	v_med3_i32 v11, v11, 0, 13
	v_lshrrev_b32_e32 v12, v11, v7
	v_lshlrev_b32_e32 v11, v11, v12
	v_cmp_ne_u32_e32 vcc, v11, v7
	v_cndmask_b32_e64 v7, 0, 1, vcc
	v_add_u32_e32 v14, 0xfffffc10, v8
	v_or_b32_e32 v7, v12, v7
	v_lshl_or_b32 v8, v14, 12, v9
	v_cmp_gt_i32_e32 vcc, 1, v14
	v_cndmask_b32_e32 v7, v8, v7, vcc
	v_and_b32_e32 v8, 7, v7
	v_cmp_lt_i32_e32 vcc, 5, v8
	v_cmp_eq_u32_e64 s[2:3], 3, v8
	v_lshrrev_b32_e32 v11, 2, v7
	ds_read2_b32 v[7:8], v61 offset0:112 offset1:168
	s_or_b64 vcc, s[2:3], vcc
	v_addc_co_u32_e32 v11, vcc, 0, v11, vcc
	v_cmp_gt_i32_e32 vcc, 31, v14
	s_waitcnt lgkmcnt(0)
	v_lshrrev_b32_e32 v16, 16, v7
	v_cndmask_b32_e32 v15, v2, v11, vcc
	v_mul_f16_sdwa v11, v78, v16 dst_sel:DWORD dst_unused:UNUSED_PAD src0_sel:WORD_1 src1_sel:DWORD
	v_fma_f16 v11, v78, v7, v11
	v_cvt_f32_f16_e32 v11, v11
	v_cmp_ne_u32_e32 vcc, 0, v9
	v_cndmask_b32_e64 v9, 0, 1, vcc
	v_lshl_or_b32 v9, v9, 9, v2
	v_cvt_f64_f32_e32 v[11:12], v11
	v_cmp_eq_u32_e32 vcc, s11, v14
	v_cndmask_b32_e32 v9, v15, v9, vcc
	v_lshrrev_b32_e32 v10, 16, v10
	v_and_or_b32 v14, v10, s14, v9
	v_mul_f64 v[9:10], v[11:12], s[12:13]
	v_add_co_u32_e32 v5, vcc, s6, v5
	v_and_b32_e32 v11, 0xffff, v13
	v_addc_co_u32_e32 v6, vcc, v6, v1, vcc
	v_lshl_or_b32 v11, v14, 16, v11
	global_store_dword v[5:6], v11, off
	v_and_or_b32 v9, v10, s15, v9
	v_cmp_ne_u32_e32 vcc, 0, v9
	v_cndmask_b32_e64 v9, 0, 1, vcc
	v_lshrrev_b32_e32 v11, 8, v10
	v_bfe_u32 v12, v10, 20, 11
	v_and_or_b32 v9, v11, s10, v9
	v_sub_u32_e32 v13, 0x3f1, v12
	v_or_b32_e32 v11, 0x1000, v9
	v_med3_i32 v13, v13, 0, 13
	v_lshrrev_b32_e32 v14, v13, v11
	v_lshlrev_b32_e32 v13, v13, v14
	v_mul_f16_sdwa v7, v78, v7 dst_sel:DWORD dst_unused:UNUSED_PAD src0_sel:WORD_1 src1_sel:DWORD
	v_cmp_ne_u32_e32 vcc, v13, v11
	v_fma_f16 v7, v78, v16, -v7
	v_cndmask_b32_e64 v11, 0, 1, vcc
	v_add_u32_e32 v13, 0xfffffc10, v12
	v_cvt_f32_f16_e32 v7, v7
	v_or_b32_e32 v11, v14, v11
	v_lshl_or_b32 v12, v13, 12, v9
	v_cmp_gt_i32_e32 vcc, 1, v13
	v_cndmask_b32_e32 v11, v12, v11, vcc
	v_and_b32_e32 v12, 7, v11
	v_cmp_lt_i32_e32 vcc, 5, v12
	v_cmp_eq_u32_e64 s[2:3], 3, v12
	v_lshrrev_b32_e32 v14, 2, v11
	v_cvt_f64_f32_e32 v[11:12], v7
	s_or_b64 vcc, s[2:3], vcc
	v_addc_co_u32_e32 v7, vcc, 0, v14, vcc
	v_mul_f64 v[11:12], v[11:12], s[12:13]
	v_cmp_gt_i32_e32 vcc, 31, v13
	v_cndmask_b32_e32 v7, v2, v7, vcc
	v_cmp_ne_u32_e32 vcc, 0, v9
	v_cndmask_b32_e64 v9, 0, 1, vcc
	v_lshl_or_b32 v9, v9, 9, v2
	v_cmp_eq_u32_e32 vcc, s11, v13
	v_cndmask_b32_e32 v7, v7, v9, vcc
	v_lshrrev_b32_e32 v9, 16, v10
	v_and_or_b32 v7, v9, s14, v7
	v_and_or_b32 v9, v12, s15, v11
	v_cmp_ne_u32_e32 vcc, 0, v9
	v_cndmask_b32_e64 v9, 0, 1, vcc
	v_lshrrev_b32_e32 v10, 8, v12
	v_and_or_b32 v11, v10, s10, v9
	v_bfe_u32 v10, v12, 20, 11
	v_sub_u32_e32 v13, 0x3f1, v10
	v_or_b32_e32 v9, 0x1000, v11
	v_med3_i32 v13, v13, 0, 13
	v_lshrrev_b32_e32 v14, v13, v9
	v_lshlrev_b32_e32 v13, v13, v14
	v_cmp_ne_u32_e32 vcc, v13, v9
	v_cndmask_b32_e64 v9, 0, 1, vcc
	v_add_u32_e32 v15, 0xfffffc10, v10
	v_or_b32_e32 v9, v14, v9
	v_lshl_or_b32 v10, v15, 12, v11
	v_cmp_gt_i32_e32 vcc, 1, v15
	v_cndmask_b32_e32 v9, v10, v9, vcc
	v_and_b32_e32 v10, 7, v9
	v_cmp_lt_i32_e32 vcc, 5, v10
	v_cmp_eq_u32_e64 s[2:3], 3, v10
	v_lshrrev_b32_e32 v13, 2, v9
	ds_read2_b32 v[9:10], v44 offset0:188 offset1:244
	s_or_b64 vcc, s[2:3], vcc
	v_addc_co_u32_e32 v13, vcc, 0, v13, vcc
	v_cmp_gt_i32_e32 vcc, 31, v15
	s_waitcnt lgkmcnt(0)
	v_lshrrev_b32_e32 v17, 16, v9
	v_cndmask_b32_e32 v16, v2, v13, vcc
	v_mul_f16_sdwa v13, v77, v17 dst_sel:DWORD dst_unused:UNUSED_PAD src0_sel:WORD_1 src1_sel:DWORD
	v_fma_f16 v13, v77, v9, v13
	v_cvt_f32_f16_e32 v13, v13
	v_cmp_ne_u32_e32 vcc, 0, v11
	v_cndmask_b32_e64 v11, 0, 1, vcc
	v_lshl_or_b32 v11, v11, 9, v2
	v_cvt_f64_f32_e32 v[13:14], v13
	v_cmp_eq_u32_e32 vcc, s11, v15
	v_cndmask_b32_e32 v11, v16, v11, vcc
	v_lshrrev_b32_e32 v12, 16, v12
	v_and_or_b32 v15, v12, s14, v11
	v_mul_f64 v[11:12], v[13:14], s[12:13]
	v_and_b32_e32 v7, 0xffff, v7
	v_add_co_u32_e32 v5, vcc, s4, v5
	v_lshl_or_b32 v7, v15, 16, v7
	v_addc_co_u32_e32 v6, vcc, v6, v4, vcc
	global_store_dword v[5:6], v7, off
	v_and_or_b32 v7, v12, s15, v11
	v_cmp_ne_u32_e32 vcc, 0, v7
	v_cndmask_b32_e64 v7, 0, 1, vcc
	v_lshrrev_b32_e32 v11, 8, v12
	v_bfe_u32 v13, v12, 20, 11
	v_and_or_b32 v7, v11, s10, v7
	v_sub_u32_e32 v14, 0x3f1, v13
	v_or_b32_e32 v11, 0x1000, v7
	v_med3_i32 v14, v14, 0, 13
	v_lshrrev_b32_e32 v15, v14, v11
	v_lshlrev_b32_e32 v14, v14, v15
	v_cmp_ne_u32_e32 vcc, v14, v11
	v_mul_f16_sdwa v9, v77, v9 dst_sel:DWORD dst_unused:UNUSED_PAD src0_sel:WORD_1 src1_sel:DWORD
	v_cndmask_b32_e64 v11, 0, 1, vcc
	v_fma_f16 v9, v77, v17, -v9
	v_or_b32_e32 v11, v15, v11
	v_add_u32_e32 v15, 0xfffffc10, v13
	v_cvt_f32_f16_e32 v9, v9
	v_lshl_or_b32 v13, v15, 12, v7
	v_cmp_gt_i32_e32 vcc, 1, v15
	v_cndmask_b32_e32 v11, v13, v11, vcc
	v_and_b32_e32 v13, 7, v11
	v_cmp_lt_i32_e32 vcc, 5, v13
	v_cmp_eq_u32_e64 s[2:3], 3, v13
	v_cvt_f64_f32_e32 v[13:14], v9
	v_lshrrev_b32_e32 v11, 2, v11
	s_or_b64 vcc, s[2:3], vcc
	v_addc_co_u32_e32 v9, vcc, 0, v11, vcc
	v_mul_f64 v[13:14], v[13:14], s[12:13]
	v_cmp_gt_i32_e32 vcc, 31, v15
	v_cndmask_b32_e32 v9, v2, v9, vcc
	v_cmp_ne_u32_e32 vcc, 0, v7
	v_cndmask_b32_e64 v7, 0, 1, vcc
	v_lshl_or_b32 v7, v7, 9, v2
	v_cmp_eq_u32_e32 vcc, s11, v15
	v_cndmask_b32_e32 v7, v9, v7, vcc
	v_lshrrev_b32_e32 v9, 16, v12
	v_and_or_b32 v7, v9, s14, v7
	v_and_or_b32 v9, v14, s15, v13
	v_cmp_ne_u32_e32 vcc, 0, v9
	v_cndmask_b32_e64 v9, 0, 1, vcc
	v_lshrrev_b32_e32 v11, 8, v14
	v_bfe_u32 v12, v14, 20, 11
	v_and_or_b32 v9, v11, s10, v9
	v_sub_u32_e32 v13, 0x3f1, v12
	v_or_b32_e32 v11, 0x1000, v9
	v_med3_i32 v13, v13, 0, 13
	v_lshrrev_b32_e32 v15, v13, v11
	v_lshlrev_b32_e32 v13, v13, v15
	v_cmp_ne_u32_e32 vcc, v13, v11
	v_cndmask_b32_e64 v11, 0, 1, vcc
	v_add_u32_e32 v13, 0xfffffc10, v12
	v_or_b32_e32 v11, v15, v11
	v_lshl_or_b32 v12, v13, 12, v9
	v_cmp_gt_i32_e32 vcc, 1, v13
	v_cndmask_b32_e32 v11, v12, v11, vcc
	v_and_b32_e32 v12, 7, v11
	v_cmp_lt_i32_e32 vcc, 5, v12
	v_cmp_eq_u32_e64 s[2:3], 3, v12
	v_lshrrev_b32_e32 v11, 2, v11
	s_or_b64 vcc, s[2:3], vcc
	v_addc_co_u32_e32 v11, vcc, 0, v11, vcc
	v_cmp_gt_i32_e32 vcc, 31, v13
	v_lshrrev_b32_e32 v16, 16, v8
	v_cndmask_b32_e32 v15, v2, v11, vcc
	v_mul_f16_sdwa v11, v76, v16 dst_sel:DWORD dst_unused:UNUSED_PAD src0_sel:WORD_1 src1_sel:DWORD
	v_fma_f16 v11, v76, v8, v11
	v_cvt_f32_f16_e32 v11, v11
	v_cmp_ne_u32_e32 vcc, 0, v9
	v_cndmask_b32_e64 v9, 0, 1, vcc
	v_lshl_or_b32 v9, v9, 9, v2
	v_cvt_f64_f32_e32 v[11:12], v11
	v_cmp_eq_u32_e32 vcc, s11, v13
	v_cndmask_b32_e32 v9, v15, v9, vcc
	v_lshrrev_b32_e32 v13, 16, v14
	v_mul_f64 v[11:12], v[11:12], s[12:13]
	v_and_or_b32 v9, v13, s14, v9
	v_and_b32_e32 v7, 0xffff, v7
	v_add_co_u32_e32 v5, vcc, s6, v5
	v_lshl_or_b32 v7, v9, 16, v7
	v_addc_co_u32_e32 v6, vcc, v6, v1, vcc
	global_store_dword v[5:6], v7, off
	v_and_or_b32 v7, v12, s15, v11
	v_cmp_ne_u32_e32 vcc, 0, v7
	v_cndmask_b32_e64 v7, 0, 1, vcc
	v_lshrrev_b32_e32 v9, 8, v12
	v_bfe_u32 v11, v12, 20, 11
	v_and_or_b32 v9, v9, s10, v7
	v_sub_u32_e32 v13, 0x3f1, v11
	v_or_b32_e32 v7, 0x1000, v9
	v_med3_i32 v13, v13, 0, 13
	v_lshrrev_b32_e32 v14, v13, v7
	v_lshlrev_b32_e32 v13, v13, v14
	v_mul_f16_sdwa v8, v76, v8 dst_sel:DWORD dst_unused:UNUSED_PAD src0_sel:WORD_1 src1_sel:DWORD
	v_cmp_ne_u32_e32 vcc, v13, v7
	v_fma_f16 v8, v76, v16, -v8
	v_cndmask_b32_e64 v7, 0, 1, vcc
	v_add_u32_e32 v11, 0xfffffc10, v11
	v_cvt_f32_f16_e32 v8, v8
	v_or_b32_e32 v7, v14, v7
	v_lshl_or_b32 v13, v11, 12, v9
	v_cmp_gt_i32_e32 vcc, 1, v11
	v_cndmask_b32_e32 v7, v13, v7, vcc
	v_and_b32_e32 v13, 7, v7
	v_cmp_lt_i32_e32 vcc, 5, v13
	v_cmp_eq_u32_e64 s[2:3], 3, v13
	v_lshrrev_b32_e32 v13, 2, v7
	v_cvt_f64_f32_e32 v[7:8], v8
	s_or_b64 vcc, s[2:3], vcc
	v_addc_co_u32_e32 v13, vcc, 0, v13, vcc
	v_mul_f64 v[7:8], v[7:8], s[12:13]
	v_cmp_gt_i32_e32 vcc, 31, v11
	v_cndmask_b32_e32 v13, v2, v13, vcc
	v_cmp_ne_u32_e32 vcc, 0, v9
	v_cndmask_b32_e64 v9, 0, 1, vcc
	v_lshl_or_b32 v9, v9, 9, v2
	v_cmp_eq_u32_e32 vcc, s11, v11
	v_cndmask_b32_e32 v9, v13, v9, vcc
	v_and_or_b32 v7, v8, s15, v7
	v_lshrrev_b32_e32 v11, 16, v12
	v_cmp_ne_u32_e32 vcc, 0, v7
	v_and_or_b32 v9, v11, s14, v9
	v_cndmask_b32_e64 v7, 0, 1, vcc
	v_lshrrev_b32_e32 v11, 8, v8
	v_bfe_u32 v12, v8, 20, 11
	v_and_or_b32 v7, v11, s10, v7
	v_sub_u32_e32 v13, 0x3f1, v12
	v_or_b32_e32 v11, 0x1000, v7
	v_med3_i32 v13, v13, 0, 13
	v_lshrrev_b32_e32 v14, v13, v11
	v_lshlrev_b32_e32 v13, v13, v14
	v_cmp_ne_u32_e32 vcc, v13, v11
	v_cndmask_b32_e64 v11, 0, 1, vcc
	v_add_u32_e32 v13, 0xfffffc10, v12
	v_or_b32_e32 v11, v14, v11
	v_lshl_or_b32 v12, v13, 12, v7
	v_cmp_gt_i32_e32 vcc, 1, v13
	v_cndmask_b32_e32 v11, v12, v11, vcc
	v_and_b32_e32 v12, 7, v11
	v_cmp_lt_i32_e32 vcc, 5, v12
	v_cmp_eq_u32_e64 s[2:3], 3, v12
	v_lshrrev_b32_e32 v11, 2, v11
	s_or_b64 vcc, s[2:3], vcc
	v_addc_co_u32_e32 v11, vcc, 0, v11, vcc
	v_cmp_gt_i32_e32 vcc, 31, v13
	v_lshrrev_b32_e32 v15, 16, v10
	v_cndmask_b32_e32 v14, v2, v11, vcc
	v_mul_f16_sdwa v11, v75, v15 dst_sel:DWORD dst_unused:UNUSED_PAD src0_sel:WORD_1 src1_sel:DWORD
	v_fma_f16 v11, v75, v10, v11
	v_cvt_f32_f16_e32 v11, v11
	v_cmp_ne_u32_e32 vcc, 0, v7
	v_cndmask_b32_e64 v7, 0, 1, vcc
	v_lshl_or_b32 v7, v7, 9, v2
	v_cvt_f64_f32_e32 v[11:12], v11
	v_cmp_eq_u32_e32 vcc, s11, v13
	v_cndmask_b32_e32 v7, v14, v7, vcc
	v_lshrrev_b32_e32 v8, 16, v8
	v_and_or_b32 v13, v8, s14, v7
	v_mul_f64 v[7:8], v[11:12], s[12:13]
	v_add_co_u32_e32 v5, vcc, s4, v5
	v_and_b32_e32 v9, 0xffff, v9
	v_addc_co_u32_e32 v6, vcc, v6, v4, vcc
	v_lshl_or_b32 v9, v13, 16, v9
	global_store_dword v[5:6], v9, off
	v_and_or_b32 v7, v8, s15, v7
	v_cmp_ne_u32_e32 vcc, 0, v7
	v_cndmask_b32_e64 v7, 0, 1, vcc
	v_lshrrev_b32_e32 v9, 8, v8
	v_bfe_u32 v11, v8, 20, 11
	v_and_or_b32 v7, v9, s10, v7
	v_sub_u32_e32 v12, 0x3f1, v11
	v_or_b32_e32 v9, 0x1000, v7
	v_med3_i32 v12, v12, 0, 13
	v_lshrrev_b32_e32 v13, v12, v9
	v_lshlrev_b32_e32 v12, v12, v13
	v_mul_f16_sdwa v10, v75, v10 dst_sel:DWORD dst_unused:UNUSED_PAD src0_sel:WORD_1 src1_sel:DWORD
	v_cmp_ne_u32_e32 vcc, v12, v9
	v_fma_f16 v10, v75, v15, -v10
	v_cndmask_b32_e64 v9, 0, 1, vcc
	v_add_u32_e32 v11, 0xfffffc10, v11
	v_cvt_f32_f16_e32 v10, v10
	v_or_b32_e32 v9, v13, v9
	v_lshl_or_b32 v12, v11, 12, v7
	v_cmp_gt_i32_e32 vcc, 1, v11
	v_cndmask_b32_e32 v9, v12, v9, vcc
	v_and_b32_e32 v12, 7, v9
	v_cmp_lt_i32_e32 vcc, 5, v12
	v_cmp_eq_u32_e64 s[2:3], 3, v12
	v_lshrrev_b32_e32 v12, 2, v9
	v_cvt_f64_f32_e32 v[9:10], v10
	s_or_b64 vcc, s[2:3], vcc
	v_addc_co_u32_e32 v12, vcc, 0, v12, vcc
	v_mul_f64 v[9:10], v[9:10], s[12:13]
	v_cmp_gt_i32_e32 vcc, 31, v11
	v_cndmask_b32_e32 v12, v2, v12, vcc
	v_cmp_ne_u32_e32 vcc, 0, v7
	v_cndmask_b32_e64 v7, 0, 1, vcc
	v_lshl_or_b32 v7, v7, 9, v2
	v_cmp_eq_u32_e32 vcc, s11, v11
	v_cndmask_b32_e32 v7, v12, v7, vcc
	v_lshrrev_b32_e32 v8, 16, v8
	v_and_or_b32 v13, v8, s14, v7
	v_and_or_b32 v7, v10, s15, v9
	v_cmp_ne_u32_e32 vcc, 0, v7
	v_cndmask_b32_e64 v7, 0, 1, vcc
	v_lshrrev_b32_e32 v8, 8, v10
	v_and_or_b32 v9, v8, s10, v7
	v_bfe_u32 v8, v10, 20, 11
	v_sub_u32_e32 v11, 0x3f1, v8
	v_or_b32_e32 v7, 0x1000, v9
	v_med3_i32 v11, v11, 0, 13
	v_lshrrev_b32_e32 v12, v11, v7
	v_lshlrev_b32_e32 v11, v11, v12
	v_cmp_ne_u32_e32 vcc, v11, v7
	v_cndmask_b32_e64 v7, 0, 1, vcc
	v_add_u32_e32 v14, 0xfffffc10, v8
	v_or_b32_e32 v7, v12, v7
	v_lshl_or_b32 v8, v14, 12, v9
	v_cmp_gt_i32_e32 vcc, 1, v14
	v_cndmask_b32_e32 v7, v8, v7, vcc
	v_and_b32_e32 v8, 7, v7
	v_cmp_lt_i32_e32 vcc, 5, v8
	v_cmp_eq_u32_e64 s[2:3], 3, v8
	v_lshrrev_b32_e32 v11, 2, v7
	ds_read2_b32 v[7:8], v43 offset0:96 offset1:152
	s_or_b64 vcc, s[2:3], vcc
	v_addc_co_u32_e32 v11, vcc, 0, v11, vcc
	v_cmp_gt_i32_e32 vcc, 31, v14
	s_waitcnt lgkmcnt(0)
	v_lshrrev_b32_e32 v16, 16, v7
	v_cndmask_b32_e32 v15, v2, v11, vcc
	v_mul_f16_sdwa v11, v74, v16 dst_sel:DWORD dst_unused:UNUSED_PAD src0_sel:WORD_1 src1_sel:DWORD
	v_fma_f16 v11, v74, v7, v11
	v_cvt_f32_f16_e32 v11, v11
	v_cmp_ne_u32_e32 vcc, 0, v9
	v_cndmask_b32_e64 v9, 0, 1, vcc
	v_lshl_or_b32 v9, v9, 9, v2
	v_cvt_f64_f32_e32 v[11:12], v11
	v_cmp_eq_u32_e32 vcc, s11, v14
	v_cndmask_b32_e32 v9, v15, v9, vcc
	v_lshrrev_b32_e32 v10, 16, v10
	v_and_or_b32 v14, v10, s14, v9
	v_mul_f64 v[9:10], v[11:12], s[12:13]
	v_add_co_u32_e32 v5, vcc, s6, v5
	v_and_b32_e32 v11, 0xffff, v13
	v_addc_co_u32_e32 v6, vcc, v6, v1, vcc
	v_lshl_or_b32 v11, v14, 16, v11
	global_store_dword v[5:6], v11, off
	v_and_or_b32 v9, v10, s15, v9
	v_cmp_ne_u32_e32 vcc, 0, v9
	v_cndmask_b32_e64 v9, 0, 1, vcc
	v_lshrrev_b32_e32 v11, 8, v10
	v_bfe_u32 v12, v10, 20, 11
	v_and_or_b32 v9, v11, s10, v9
	v_sub_u32_e32 v13, 0x3f1, v12
	v_or_b32_e32 v11, 0x1000, v9
	v_med3_i32 v13, v13, 0, 13
	v_lshrrev_b32_e32 v14, v13, v11
	v_lshlrev_b32_e32 v13, v13, v14
	v_mul_f16_sdwa v7, v74, v7 dst_sel:DWORD dst_unused:UNUSED_PAD src0_sel:WORD_1 src1_sel:DWORD
	v_cmp_ne_u32_e32 vcc, v13, v11
	v_fma_f16 v7, v74, v16, -v7
	v_cndmask_b32_e64 v11, 0, 1, vcc
	v_add_u32_e32 v13, 0xfffffc10, v12
	v_cvt_f32_f16_e32 v7, v7
	v_or_b32_e32 v11, v14, v11
	v_lshl_or_b32 v12, v13, 12, v9
	v_cmp_gt_i32_e32 vcc, 1, v13
	v_cndmask_b32_e32 v11, v12, v11, vcc
	v_and_b32_e32 v12, 7, v11
	v_cmp_lt_i32_e32 vcc, 5, v12
	v_cmp_eq_u32_e64 s[2:3], 3, v12
	v_lshrrev_b32_e32 v14, 2, v11
	v_cvt_f64_f32_e32 v[11:12], v7
	s_or_b64 vcc, s[2:3], vcc
	v_addc_co_u32_e32 v7, vcc, 0, v14, vcc
	v_mul_f64 v[11:12], v[11:12], s[12:13]
	v_cmp_gt_i32_e32 vcc, 31, v13
	v_cndmask_b32_e32 v7, v2, v7, vcc
	v_cmp_ne_u32_e32 vcc, 0, v9
	v_cndmask_b32_e64 v9, 0, 1, vcc
	v_lshl_or_b32 v9, v9, 9, v2
	v_cmp_eq_u32_e32 vcc, s11, v13
	v_cndmask_b32_e32 v7, v7, v9, vcc
	v_lshrrev_b32_e32 v9, 16, v10
	v_and_or_b32 v7, v9, s14, v7
	v_and_or_b32 v9, v12, s15, v11
	v_cmp_ne_u32_e32 vcc, 0, v9
	v_cndmask_b32_e64 v9, 0, 1, vcc
	v_lshrrev_b32_e32 v10, 8, v12
	v_and_or_b32 v11, v10, s10, v9
	v_bfe_u32 v10, v12, 20, 11
	v_sub_u32_e32 v13, 0x3f1, v10
	v_or_b32_e32 v9, 0x1000, v11
	v_med3_i32 v13, v13, 0, 13
	v_lshrrev_b32_e32 v14, v13, v9
	v_lshlrev_b32_e32 v13, v13, v14
	v_cmp_ne_u32_e32 vcc, v13, v9
	v_cndmask_b32_e64 v9, 0, 1, vcc
	v_add_u32_e32 v15, 0xfffffc10, v10
	v_or_b32_e32 v9, v14, v9
	v_lshl_or_b32 v10, v15, 12, v11
	v_cmp_gt_i32_e32 vcc, 1, v15
	v_cndmask_b32_e32 v9, v10, v9, vcc
	v_and_b32_e32 v10, 7, v9
	v_cmp_lt_i32_e32 vcc, 5, v10
	v_cmp_eq_u32_e64 s[2:3], 3, v10
	v_lshrrev_b32_e32 v13, 2, v9
	ds_read2_b32 v[9:10], v42 offset0:44 offset1:100
	s_or_b64 vcc, s[2:3], vcc
	v_addc_co_u32_e32 v13, vcc, 0, v13, vcc
	v_cmp_gt_i32_e32 vcc, 31, v15
	s_waitcnt lgkmcnt(0)
	v_lshrrev_b32_e32 v17, 16, v9
	v_cndmask_b32_e32 v16, v2, v13, vcc
	v_mul_f16_sdwa v13, v73, v17 dst_sel:DWORD dst_unused:UNUSED_PAD src0_sel:WORD_1 src1_sel:DWORD
	v_fma_f16 v13, v73, v9, v13
	v_cvt_f32_f16_e32 v13, v13
	v_cmp_ne_u32_e32 vcc, 0, v11
	v_cndmask_b32_e64 v11, 0, 1, vcc
	v_lshl_or_b32 v11, v11, 9, v2
	v_cvt_f64_f32_e32 v[13:14], v13
	v_cmp_eq_u32_e32 vcc, s11, v15
	v_cndmask_b32_e32 v11, v16, v11, vcc
	v_lshrrev_b32_e32 v12, 16, v12
	v_and_or_b32 v15, v12, s14, v11
	v_mul_f64 v[11:12], v[13:14], s[12:13]
	v_and_b32_e32 v7, 0xffff, v7
	v_add_co_u32_e32 v5, vcc, s4, v5
	v_lshl_or_b32 v7, v15, 16, v7
	v_addc_co_u32_e32 v6, vcc, v6, v4, vcc
	global_store_dword v[5:6], v7, off
	v_and_or_b32 v7, v12, s15, v11
	v_cmp_ne_u32_e32 vcc, 0, v7
	v_cndmask_b32_e64 v7, 0, 1, vcc
	v_lshrrev_b32_e32 v11, 8, v12
	v_bfe_u32 v13, v12, 20, 11
	v_and_or_b32 v7, v11, s10, v7
	v_sub_u32_e32 v14, 0x3f1, v13
	v_or_b32_e32 v11, 0x1000, v7
	v_med3_i32 v14, v14, 0, 13
	v_lshrrev_b32_e32 v15, v14, v11
	v_lshlrev_b32_e32 v14, v14, v15
	v_cmp_ne_u32_e32 vcc, v14, v11
	v_mul_f16_sdwa v9, v73, v9 dst_sel:DWORD dst_unused:UNUSED_PAD src0_sel:WORD_1 src1_sel:DWORD
	v_cndmask_b32_e64 v11, 0, 1, vcc
	v_fma_f16 v9, v73, v17, -v9
	v_or_b32_e32 v11, v15, v11
	v_add_u32_e32 v15, 0xfffffc10, v13
	v_cvt_f32_f16_e32 v9, v9
	v_lshl_or_b32 v13, v15, 12, v7
	v_cmp_gt_i32_e32 vcc, 1, v15
	v_cndmask_b32_e32 v11, v13, v11, vcc
	v_and_b32_e32 v13, 7, v11
	v_cmp_lt_i32_e32 vcc, 5, v13
	v_cmp_eq_u32_e64 s[2:3], 3, v13
	v_cvt_f64_f32_e32 v[13:14], v9
	v_lshrrev_b32_e32 v11, 2, v11
	s_or_b64 vcc, s[2:3], vcc
	v_addc_co_u32_e32 v9, vcc, 0, v11, vcc
	v_mul_f64 v[13:14], v[13:14], s[12:13]
	v_cmp_gt_i32_e32 vcc, 31, v15
	v_cndmask_b32_e32 v9, v2, v9, vcc
	v_cmp_ne_u32_e32 vcc, 0, v7
	v_cndmask_b32_e64 v7, 0, 1, vcc
	v_lshl_or_b32 v7, v7, 9, v2
	v_cmp_eq_u32_e32 vcc, s11, v15
	v_cndmask_b32_e32 v7, v9, v7, vcc
	v_lshrrev_b32_e32 v9, 16, v12
	v_and_or_b32 v7, v9, s14, v7
	v_and_or_b32 v9, v14, s15, v13
	v_cmp_ne_u32_e32 vcc, 0, v9
	v_cndmask_b32_e64 v9, 0, 1, vcc
	v_lshrrev_b32_e32 v11, 8, v14
	v_bfe_u32 v12, v14, 20, 11
	v_and_or_b32 v9, v11, s10, v9
	v_sub_u32_e32 v13, 0x3f1, v12
	v_or_b32_e32 v11, 0x1000, v9
	v_med3_i32 v13, v13, 0, 13
	v_lshrrev_b32_e32 v15, v13, v11
	v_lshlrev_b32_e32 v13, v13, v15
	v_cmp_ne_u32_e32 vcc, v13, v11
	v_cndmask_b32_e64 v11, 0, 1, vcc
	v_add_u32_e32 v13, 0xfffffc10, v12
	v_or_b32_e32 v11, v15, v11
	v_lshl_or_b32 v12, v13, 12, v9
	v_cmp_gt_i32_e32 vcc, 1, v13
	v_cndmask_b32_e32 v11, v12, v11, vcc
	v_and_b32_e32 v12, 7, v11
	v_cmp_lt_i32_e32 vcc, 5, v12
	v_cmp_eq_u32_e64 s[2:3], 3, v12
	v_lshrrev_b32_e32 v11, 2, v11
	s_or_b64 vcc, s[2:3], vcc
	v_addc_co_u32_e32 v11, vcc, 0, v11, vcc
	v_cmp_gt_i32_e32 vcc, 31, v13
	v_lshrrev_b32_e32 v16, 16, v8
	v_cndmask_b32_e32 v15, v2, v11, vcc
	v_mul_f16_sdwa v11, v72, v16 dst_sel:DWORD dst_unused:UNUSED_PAD src0_sel:WORD_1 src1_sel:DWORD
	v_fma_f16 v11, v72, v8, v11
	v_cvt_f32_f16_e32 v11, v11
	v_cmp_ne_u32_e32 vcc, 0, v9
	v_cndmask_b32_e64 v9, 0, 1, vcc
	v_lshl_or_b32 v9, v9, 9, v2
	v_cvt_f64_f32_e32 v[11:12], v11
	v_cmp_eq_u32_e32 vcc, s11, v13
	v_cndmask_b32_e32 v9, v15, v9, vcc
	v_lshrrev_b32_e32 v13, 16, v14
	v_mul_f64 v[11:12], v[11:12], s[12:13]
	v_and_or_b32 v9, v13, s14, v9
	v_and_b32_e32 v7, 0xffff, v7
	v_add_co_u32_e32 v5, vcc, s6, v5
	v_lshl_or_b32 v7, v9, 16, v7
	v_addc_co_u32_e32 v6, vcc, v6, v1, vcc
	global_store_dword v[5:6], v7, off
	v_and_or_b32 v7, v12, s15, v11
	v_cmp_ne_u32_e32 vcc, 0, v7
	v_cndmask_b32_e64 v7, 0, 1, vcc
	v_lshrrev_b32_e32 v9, 8, v12
	v_bfe_u32 v11, v12, 20, 11
	v_and_or_b32 v9, v9, s10, v7
	v_sub_u32_e32 v13, 0x3f1, v11
	v_or_b32_e32 v7, 0x1000, v9
	v_med3_i32 v13, v13, 0, 13
	v_lshrrev_b32_e32 v14, v13, v7
	v_lshlrev_b32_e32 v13, v13, v14
	v_mul_f16_sdwa v8, v72, v8 dst_sel:DWORD dst_unused:UNUSED_PAD src0_sel:WORD_1 src1_sel:DWORD
	v_cmp_ne_u32_e32 vcc, v13, v7
	v_fma_f16 v8, v72, v16, -v8
	v_cndmask_b32_e64 v7, 0, 1, vcc
	v_add_u32_e32 v11, 0xfffffc10, v11
	v_cvt_f32_f16_e32 v8, v8
	v_or_b32_e32 v7, v14, v7
	v_lshl_or_b32 v13, v11, 12, v9
	v_cmp_gt_i32_e32 vcc, 1, v11
	v_cndmask_b32_e32 v7, v13, v7, vcc
	v_and_b32_e32 v13, 7, v7
	v_cmp_lt_i32_e32 vcc, 5, v13
	v_cmp_eq_u32_e64 s[2:3], 3, v13
	v_lshrrev_b32_e32 v13, 2, v7
	v_cvt_f64_f32_e32 v[7:8], v8
	s_or_b64 vcc, s[2:3], vcc
	v_addc_co_u32_e32 v13, vcc, 0, v13, vcc
	v_mul_f64 v[7:8], v[7:8], s[12:13]
	v_cmp_gt_i32_e32 vcc, 31, v11
	v_cndmask_b32_e32 v13, v2, v13, vcc
	v_cmp_ne_u32_e32 vcc, 0, v9
	v_cndmask_b32_e64 v9, 0, 1, vcc
	v_lshl_or_b32 v9, v9, 9, v2
	v_cmp_eq_u32_e32 vcc, s11, v11
	v_cndmask_b32_e32 v9, v13, v9, vcc
	v_and_or_b32 v7, v8, s15, v7
	v_lshrrev_b32_e32 v11, 16, v12
	v_cmp_ne_u32_e32 vcc, 0, v7
	v_and_or_b32 v9, v11, s14, v9
	v_cndmask_b32_e64 v7, 0, 1, vcc
	v_lshrrev_b32_e32 v11, 8, v8
	v_bfe_u32 v12, v8, 20, 11
	v_and_or_b32 v7, v11, s10, v7
	v_sub_u32_e32 v13, 0x3f1, v12
	v_or_b32_e32 v11, 0x1000, v7
	v_med3_i32 v13, v13, 0, 13
	v_lshrrev_b32_e32 v14, v13, v11
	v_lshlrev_b32_e32 v13, v13, v14
	v_cmp_ne_u32_e32 vcc, v13, v11
	v_cndmask_b32_e64 v11, 0, 1, vcc
	v_add_u32_e32 v13, 0xfffffc10, v12
	v_or_b32_e32 v11, v14, v11
	v_lshl_or_b32 v12, v13, 12, v7
	v_cmp_gt_i32_e32 vcc, 1, v13
	v_cndmask_b32_e32 v11, v12, v11, vcc
	v_and_b32_e32 v12, 7, v11
	v_cmp_lt_i32_e32 vcc, 5, v12
	v_cmp_eq_u32_e64 s[2:3], 3, v12
	v_lshrrev_b32_e32 v11, 2, v11
	s_or_b64 vcc, s[2:3], vcc
	v_addc_co_u32_e32 v11, vcc, 0, v11, vcc
	v_cmp_gt_i32_e32 vcc, 31, v13
	v_lshrrev_b32_e32 v15, 16, v10
	v_cndmask_b32_e32 v14, v2, v11, vcc
	v_mul_f16_sdwa v11, v71, v15 dst_sel:DWORD dst_unused:UNUSED_PAD src0_sel:WORD_1 src1_sel:DWORD
	v_fma_f16 v11, v71, v10, v11
	v_cvt_f32_f16_e32 v11, v11
	v_cmp_ne_u32_e32 vcc, 0, v7
	v_cndmask_b32_e64 v7, 0, 1, vcc
	v_lshl_or_b32 v7, v7, 9, v2
	v_cvt_f64_f32_e32 v[11:12], v11
	v_cmp_eq_u32_e32 vcc, s11, v13
	v_cndmask_b32_e32 v7, v14, v7, vcc
	v_lshrrev_b32_e32 v8, 16, v8
	v_and_or_b32 v13, v8, s14, v7
	v_mul_f64 v[7:8], v[11:12], s[12:13]
	v_add_co_u32_e32 v5, vcc, s4, v5
	v_and_b32_e32 v9, 0xffff, v9
	v_addc_co_u32_e32 v6, vcc, v6, v4, vcc
	v_lshl_or_b32 v9, v13, 16, v9
	global_store_dword v[5:6], v9, off
	v_and_or_b32 v7, v8, s15, v7
	v_cmp_ne_u32_e32 vcc, 0, v7
	v_cndmask_b32_e64 v7, 0, 1, vcc
	v_lshrrev_b32_e32 v9, 8, v8
	v_bfe_u32 v11, v8, 20, 11
	v_and_or_b32 v7, v9, s10, v7
	v_sub_u32_e32 v12, 0x3f1, v11
	v_or_b32_e32 v9, 0x1000, v7
	v_med3_i32 v12, v12, 0, 13
	v_lshrrev_b32_e32 v13, v12, v9
	v_lshlrev_b32_e32 v12, v12, v13
	v_mul_f16_sdwa v10, v71, v10 dst_sel:DWORD dst_unused:UNUSED_PAD src0_sel:WORD_1 src1_sel:DWORD
	v_cmp_ne_u32_e32 vcc, v12, v9
	v_fma_f16 v10, v71, v15, -v10
	v_cndmask_b32_e64 v9, 0, 1, vcc
	v_add_u32_e32 v11, 0xfffffc10, v11
	v_cvt_f32_f16_e32 v10, v10
	v_or_b32_e32 v9, v13, v9
	v_lshl_or_b32 v12, v11, 12, v7
	v_cmp_gt_i32_e32 vcc, 1, v11
	v_cndmask_b32_e32 v9, v12, v9, vcc
	v_and_b32_e32 v12, 7, v9
	v_cmp_lt_i32_e32 vcc, 5, v12
	v_cmp_eq_u32_e64 s[2:3], 3, v12
	v_lshrrev_b32_e32 v12, 2, v9
	v_cvt_f64_f32_e32 v[9:10], v10
	s_or_b64 vcc, s[2:3], vcc
	v_addc_co_u32_e32 v12, vcc, 0, v12, vcc
	v_mul_f64 v[9:10], v[9:10], s[12:13]
	v_cmp_gt_i32_e32 vcc, 31, v11
	v_cndmask_b32_e32 v12, v2, v12, vcc
	v_cmp_ne_u32_e32 vcc, 0, v7
	v_cndmask_b32_e64 v7, 0, 1, vcc
	v_lshl_or_b32 v7, v7, 9, v2
	v_cmp_eq_u32_e32 vcc, s11, v11
	v_cndmask_b32_e32 v7, v12, v7, vcc
	v_lshrrev_b32_e32 v8, 16, v8
	v_and_or_b32 v13, v8, s14, v7
	v_and_or_b32 v7, v10, s15, v9
	v_cmp_ne_u32_e32 vcc, 0, v7
	v_cndmask_b32_e64 v7, 0, 1, vcc
	v_lshrrev_b32_e32 v8, 8, v10
	v_and_or_b32 v9, v8, s10, v7
	v_bfe_u32 v8, v10, 20, 11
	v_sub_u32_e32 v11, 0x3f1, v8
	v_or_b32_e32 v7, 0x1000, v9
	v_med3_i32 v11, v11, 0, 13
	v_lshrrev_b32_e32 v12, v11, v7
	v_lshlrev_b32_e32 v11, v11, v12
	v_cmp_ne_u32_e32 vcc, v11, v7
	v_cndmask_b32_e64 v7, 0, 1, vcc
	v_add_u32_e32 v14, 0xfffffc10, v8
	v_or_b32_e32 v7, v12, v7
	v_lshl_or_b32 v8, v14, 12, v9
	v_cmp_gt_i32_e32 vcc, 1, v14
	v_cndmask_b32_e32 v7, v8, v7, vcc
	v_and_b32_e32 v8, 7, v7
	v_cmp_lt_i32_e32 vcc, 5, v8
	v_cmp_eq_u32_e64 s[2:3], 3, v8
	v_lshrrev_b32_e32 v11, 2, v7
	ds_read2_b32 v[7:8], v41 offset0:80 offset1:136
	s_or_b64 vcc, s[2:3], vcc
	v_addc_co_u32_e32 v11, vcc, 0, v11, vcc
	v_cmp_gt_i32_e32 vcc, 31, v14
	s_waitcnt lgkmcnt(0)
	v_lshrrev_b32_e32 v16, 16, v7
	v_cndmask_b32_e32 v15, v2, v11, vcc
	v_mul_f16_sdwa v11, v69, v16 dst_sel:DWORD dst_unused:UNUSED_PAD src0_sel:WORD_1 src1_sel:DWORD
	v_fma_f16 v11, v69, v7, v11
	v_cvt_f32_f16_e32 v11, v11
	v_cmp_ne_u32_e32 vcc, 0, v9
	v_cndmask_b32_e64 v9, 0, 1, vcc
	v_lshl_or_b32 v9, v9, 9, v2
	v_cvt_f64_f32_e32 v[11:12], v11
	v_cmp_eq_u32_e32 vcc, s11, v14
	v_cndmask_b32_e32 v9, v15, v9, vcc
	v_lshrrev_b32_e32 v10, 16, v10
	v_and_or_b32 v14, v10, s14, v9
	v_mul_f64 v[9:10], v[11:12], s[12:13]
	v_add_co_u32_e32 v5, vcc, s6, v5
	v_and_b32_e32 v11, 0xffff, v13
	v_addc_co_u32_e32 v6, vcc, v6, v1, vcc
	v_lshl_or_b32 v11, v14, 16, v11
	global_store_dword v[5:6], v11, off
	v_and_or_b32 v9, v10, s15, v9
	v_cmp_ne_u32_e32 vcc, 0, v9
	v_cndmask_b32_e64 v9, 0, 1, vcc
	v_lshrrev_b32_e32 v11, 8, v10
	v_bfe_u32 v12, v10, 20, 11
	v_and_or_b32 v9, v11, s10, v9
	v_sub_u32_e32 v13, 0x3f1, v12
	v_or_b32_e32 v11, 0x1000, v9
	v_med3_i32 v13, v13, 0, 13
	v_lshrrev_b32_e32 v14, v13, v11
	v_lshlrev_b32_e32 v13, v13, v14
	v_mul_f16_sdwa v7, v69, v7 dst_sel:DWORD dst_unused:UNUSED_PAD src0_sel:WORD_1 src1_sel:DWORD
	v_cmp_ne_u32_e32 vcc, v13, v11
	v_fma_f16 v7, v69, v16, -v7
	v_cndmask_b32_e64 v11, 0, 1, vcc
	v_add_u32_e32 v13, 0xfffffc10, v12
	v_cvt_f32_f16_e32 v7, v7
	v_or_b32_e32 v11, v14, v11
	v_lshl_or_b32 v12, v13, 12, v9
	v_cmp_gt_i32_e32 vcc, 1, v13
	v_cndmask_b32_e32 v11, v12, v11, vcc
	v_and_b32_e32 v12, 7, v11
	v_cmp_lt_i32_e32 vcc, 5, v12
	v_cmp_eq_u32_e64 s[2:3], 3, v12
	v_lshrrev_b32_e32 v14, 2, v11
	v_cvt_f64_f32_e32 v[11:12], v7
	s_or_b64 vcc, s[2:3], vcc
	v_addc_co_u32_e32 v7, vcc, 0, v14, vcc
	v_mul_f64 v[11:12], v[11:12], s[12:13]
	v_cmp_gt_i32_e32 vcc, 31, v13
	v_cndmask_b32_e32 v7, v2, v7, vcc
	v_cmp_ne_u32_e32 vcc, 0, v9
	v_cndmask_b32_e64 v9, 0, 1, vcc
	v_lshl_or_b32 v9, v9, 9, v2
	v_cmp_eq_u32_e32 vcc, s11, v13
	v_cndmask_b32_e32 v7, v7, v9, vcc
	v_lshrrev_b32_e32 v9, 16, v10
	v_and_or_b32 v7, v9, s14, v7
	v_and_or_b32 v9, v12, s15, v11
	v_cmp_ne_u32_e32 vcc, 0, v9
	v_cndmask_b32_e64 v9, 0, 1, vcc
	v_lshrrev_b32_e32 v10, 8, v12
	v_and_or_b32 v11, v10, s10, v9
	v_bfe_u32 v10, v12, 20, 11
	v_sub_u32_e32 v13, 0x3f1, v10
	v_or_b32_e32 v9, 0x1000, v11
	v_med3_i32 v13, v13, 0, 13
	v_lshrrev_b32_e32 v14, v13, v9
	v_lshlrev_b32_e32 v13, v13, v14
	v_cmp_ne_u32_e32 vcc, v13, v9
	v_cndmask_b32_e64 v9, 0, 1, vcc
	v_add_u32_e32 v15, 0xfffffc10, v10
	v_or_b32_e32 v9, v14, v9
	v_lshl_or_b32 v10, v15, 12, v11
	v_cmp_gt_i32_e32 vcc, 1, v15
	v_cndmask_b32_e32 v9, v10, v9, vcc
	v_and_b32_e32 v10, 7, v9
	v_cmp_lt_i32_e32 vcc, 5, v10
	v_cmp_eq_u32_e64 s[2:3], 3, v10
	v_lshrrev_b32_e32 v13, 2, v9
	ds_read2_b32 v[9:10], v42 offset0:156 offset1:212
	s_or_b64 vcc, s[2:3], vcc
	v_addc_co_u32_e32 v13, vcc, 0, v13, vcc
	v_cmp_gt_i32_e32 vcc, 31, v15
	s_waitcnt lgkmcnt(0)
	v_lshrrev_b32_e32 v17, 16, v9
	v_cndmask_b32_e32 v16, v2, v13, vcc
	v_mul_f16_sdwa v13, v70, v17 dst_sel:DWORD dst_unused:UNUSED_PAD src0_sel:WORD_1 src1_sel:DWORD
	v_fma_f16 v13, v70, v9, v13
	v_cvt_f32_f16_e32 v13, v13
	v_cmp_ne_u32_e32 vcc, 0, v11
	v_cndmask_b32_e64 v11, 0, 1, vcc
	v_lshl_or_b32 v11, v11, 9, v2
	v_cvt_f64_f32_e32 v[13:14], v13
	v_cmp_eq_u32_e32 vcc, s11, v15
	v_cndmask_b32_e32 v11, v16, v11, vcc
	v_lshrrev_b32_e32 v12, 16, v12
	v_and_or_b32 v15, v12, s14, v11
	v_mul_f64 v[11:12], v[13:14], s[12:13]
	v_and_b32_e32 v7, 0xffff, v7
	v_add_co_u32_e32 v5, vcc, s4, v5
	v_lshl_or_b32 v7, v15, 16, v7
	v_addc_co_u32_e32 v6, vcc, v6, v4, vcc
	global_store_dword v[5:6], v7, off
	v_and_or_b32 v7, v12, s15, v11
	v_cmp_ne_u32_e32 vcc, 0, v7
	v_cndmask_b32_e64 v7, 0, 1, vcc
	v_lshrrev_b32_e32 v11, 8, v12
	v_bfe_u32 v13, v12, 20, 11
	v_and_or_b32 v7, v11, s10, v7
	v_sub_u32_e32 v14, 0x3f1, v13
	v_or_b32_e32 v11, 0x1000, v7
	v_med3_i32 v14, v14, 0, 13
	v_lshrrev_b32_e32 v15, v14, v11
	v_lshlrev_b32_e32 v14, v14, v15
	v_cmp_ne_u32_e32 vcc, v14, v11
	v_mul_f16_sdwa v9, v70, v9 dst_sel:DWORD dst_unused:UNUSED_PAD src0_sel:WORD_1 src1_sel:DWORD
	v_cndmask_b32_e64 v11, 0, 1, vcc
	v_fma_f16 v9, v70, v17, -v9
	v_or_b32_e32 v11, v15, v11
	v_add_u32_e32 v15, 0xfffffc10, v13
	v_cvt_f32_f16_e32 v9, v9
	v_lshl_or_b32 v13, v15, 12, v7
	v_cmp_gt_i32_e32 vcc, 1, v15
	v_cndmask_b32_e32 v11, v13, v11, vcc
	v_and_b32_e32 v13, 7, v11
	v_cmp_lt_i32_e32 vcc, 5, v13
	v_cmp_eq_u32_e64 s[2:3], 3, v13
	v_cvt_f64_f32_e32 v[13:14], v9
	v_lshrrev_b32_e32 v11, 2, v11
	s_or_b64 vcc, s[2:3], vcc
	v_addc_co_u32_e32 v9, vcc, 0, v11, vcc
	v_mul_f64 v[13:14], v[13:14], s[12:13]
	v_cmp_gt_i32_e32 vcc, 31, v15
	v_cndmask_b32_e32 v9, v2, v9, vcc
	v_cmp_ne_u32_e32 vcc, 0, v7
	v_cndmask_b32_e64 v7, 0, 1, vcc
	v_lshl_or_b32 v7, v7, 9, v2
	v_cmp_eq_u32_e32 vcc, s11, v15
	v_cndmask_b32_e32 v7, v9, v7, vcc
	v_lshrrev_b32_e32 v9, 16, v12
	v_and_or_b32 v7, v9, s14, v7
	v_and_or_b32 v9, v14, s15, v13
	v_cmp_ne_u32_e32 vcc, 0, v9
	v_cndmask_b32_e64 v9, 0, 1, vcc
	v_lshrrev_b32_e32 v11, 8, v14
	v_bfe_u32 v12, v14, 20, 11
	v_and_or_b32 v9, v11, s10, v9
	v_sub_u32_e32 v13, 0x3f1, v12
	v_or_b32_e32 v11, 0x1000, v9
	v_med3_i32 v13, v13, 0, 13
	v_lshrrev_b32_e32 v15, v13, v11
	v_lshlrev_b32_e32 v13, v13, v15
	v_cmp_ne_u32_e32 vcc, v13, v11
	v_cndmask_b32_e64 v11, 0, 1, vcc
	v_add_u32_e32 v13, 0xfffffc10, v12
	v_or_b32_e32 v11, v15, v11
	v_lshl_or_b32 v12, v13, 12, v9
	v_cmp_gt_i32_e32 vcc, 1, v13
	v_cndmask_b32_e32 v11, v12, v11, vcc
	v_and_b32_e32 v12, 7, v11
	v_cmp_lt_i32_e32 vcc, 5, v12
	v_cmp_eq_u32_e64 s[2:3], 3, v12
	v_lshrrev_b32_e32 v11, 2, v11
	s_or_b64 vcc, s[2:3], vcc
	v_addc_co_u32_e32 v11, vcc, 0, v11, vcc
	v_cmp_gt_i32_e32 vcc, 31, v13
	v_lshrrev_b32_e32 v16, 16, v8
	v_cndmask_b32_e32 v15, v2, v11, vcc
	v_mul_f16_sdwa v11, v67, v16 dst_sel:DWORD dst_unused:UNUSED_PAD src0_sel:WORD_1 src1_sel:DWORD
	v_fma_f16 v11, v67, v8, v11
	v_cvt_f32_f16_e32 v11, v11
	v_cmp_ne_u32_e32 vcc, 0, v9
	v_cndmask_b32_e64 v9, 0, 1, vcc
	v_lshl_or_b32 v9, v9, 9, v2
	v_cvt_f64_f32_e32 v[11:12], v11
	v_cmp_eq_u32_e32 vcc, s11, v13
	v_cndmask_b32_e32 v9, v15, v9, vcc
	v_lshrrev_b32_e32 v13, 16, v14
	v_mul_f64 v[11:12], v[11:12], s[12:13]
	v_and_or_b32 v9, v13, s14, v9
	v_and_b32_e32 v7, 0xffff, v7
	v_add_co_u32_e32 v5, vcc, s6, v5
	v_lshl_or_b32 v7, v9, 16, v7
	v_addc_co_u32_e32 v6, vcc, v6, v1, vcc
	global_store_dword v[5:6], v7, off
	v_and_or_b32 v7, v12, s15, v11
	v_cmp_ne_u32_e32 vcc, 0, v7
	v_cndmask_b32_e64 v7, 0, 1, vcc
	v_lshrrev_b32_e32 v9, 8, v12
	v_bfe_u32 v11, v12, 20, 11
	v_and_or_b32 v9, v9, s10, v7
	v_sub_u32_e32 v13, 0x3f1, v11
	v_or_b32_e32 v7, 0x1000, v9
	v_med3_i32 v13, v13, 0, 13
	v_lshrrev_b32_e32 v14, v13, v7
	v_lshlrev_b32_e32 v13, v13, v14
	v_mul_f16_sdwa v8, v67, v8 dst_sel:DWORD dst_unused:UNUSED_PAD src0_sel:WORD_1 src1_sel:DWORD
	v_cmp_ne_u32_e32 vcc, v13, v7
	v_fma_f16 v8, v67, v16, -v8
	v_cndmask_b32_e64 v7, 0, 1, vcc
	v_add_u32_e32 v11, 0xfffffc10, v11
	v_cvt_f32_f16_e32 v8, v8
	v_or_b32_e32 v7, v14, v7
	v_lshl_or_b32 v13, v11, 12, v9
	v_cmp_gt_i32_e32 vcc, 1, v11
	v_cndmask_b32_e32 v7, v13, v7, vcc
	v_and_b32_e32 v13, 7, v7
	v_cmp_lt_i32_e32 vcc, 5, v13
	v_cmp_eq_u32_e64 s[2:3], 3, v13
	v_lshrrev_b32_e32 v13, 2, v7
	v_cvt_f64_f32_e32 v[7:8], v8
	s_or_b64 vcc, s[2:3], vcc
	v_addc_co_u32_e32 v13, vcc, 0, v13, vcc
	v_mul_f64 v[7:8], v[7:8], s[12:13]
	v_cmp_gt_i32_e32 vcc, 31, v11
	v_cndmask_b32_e32 v13, v2, v13, vcc
	v_cmp_ne_u32_e32 vcc, 0, v9
	v_cndmask_b32_e64 v9, 0, 1, vcc
	v_lshl_or_b32 v9, v9, 9, v2
	v_cmp_eq_u32_e32 vcc, s11, v11
	v_cndmask_b32_e32 v9, v13, v9, vcc
	v_and_or_b32 v7, v8, s15, v7
	v_lshrrev_b32_e32 v11, 16, v12
	v_cmp_ne_u32_e32 vcc, 0, v7
	v_and_or_b32 v9, v11, s14, v9
	v_cndmask_b32_e64 v7, 0, 1, vcc
	v_lshrrev_b32_e32 v11, 8, v8
	v_bfe_u32 v12, v8, 20, 11
	v_and_or_b32 v7, v11, s10, v7
	v_sub_u32_e32 v13, 0x3f1, v12
	v_or_b32_e32 v11, 0x1000, v7
	v_med3_i32 v13, v13, 0, 13
	v_lshrrev_b32_e32 v14, v13, v11
	v_lshlrev_b32_e32 v13, v13, v14
	v_cmp_ne_u32_e32 vcc, v13, v11
	v_cndmask_b32_e64 v11, 0, 1, vcc
	v_add_u32_e32 v13, 0xfffffc10, v12
	v_or_b32_e32 v11, v14, v11
	v_lshl_or_b32 v12, v13, 12, v7
	v_cmp_gt_i32_e32 vcc, 1, v13
	v_cndmask_b32_e32 v11, v12, v11, vcc
	v_and_b32_e32 v12, 7, v11
	v_cmp_lt_i32_e32 vcc, 5, v12
	v_cmp_eq_u32_e64 s[2:3], 3, v12
	v_lshrrev_b32_e32 v11, 2, v11
	s_or_b64 vcc, s[2:3], vcc
	v_addc_co_u32_e32 v11, vcc, 0, v11, vcc
	v_cmp_gt_i32_e32 vcc, 31, v13
	v_lshrrev_b32_e32 v15, 16, v10
	v_cndmask_b32_e32 v14, v2, v11, vcc
	v_mul_f16_sdwa v11, v68, v15 dst_sel:DWORD dst_unused:UNUSED_PAD src0_sel:WORD_1 src1_sel:DWORD
	v_fma_f16 v11, v68, v10, v11
	v_cvt_f32_f16_e32 v11, v11
	v_cmp_ne_u32_e32 vcc, 0, v7
	v_cndmask_b32_e64 v7, 0, 1, vcc
	v_lshl_or_b32 v7, v7, 9, v2
	v_cvt_f64_f32_e32 v[11:12], v11
	v_cmp_eq_u32_e32 vcc, s11, v13
	v_cndmask_b32_e32 v7, v14, v7, vcc
	v_lshrrev_b32_e32 v8, 16, v8
	v_and_or_b32 v13, v8, s14, v7
	v_mul_f64 v[7:8], v[11:12], s[12:13]
	v_add_co_u32_e32 v5, vcc, s4, v5
	v_and_b32_e32 v9, 0xffff, v9
	v_addc_co_u32_e32 v6, vcc, v6, v4, vcc
	v_lshl_or_b32 v9, v13, 16, v9
	global_store_dword v[5:6], v9, off
	v_and_or_b32 v7, v8, s15, v7
	v_cmp_ne_u32_e32 vcc, 0, v7
	v_cndmask_b32_e64 v7, 0, 1, vcc
	v_lshrrev_b32_e32 v9, 8, v8
	v_bfe_u32 v11, v8, 20, 11
	v_and_or_b32 v7, v9, s10, v7
	v_sub_u32_e32 v12, 0x3f1, v11
	v_or_b32_e32 v9, 0x1000, v7
	v_med3_i32 v12, v12, 0, 13
	v_lshrrev_b32_e32 v13, v12, v9
	v_lshlrev_b32_e32 v12, v12, v13
	v_mul_f16_sdwa v10, v68, v10 dst_sel:DWORD dst_unused:UNUSED_PAD src0_sel:WORD_1 src1_sel:DWORD
	v_cmp_ne_u32_e32 vcc, v12, v9
	v_fma_f16 v10, v68, v15, -v10
	v_cndmask_b32_e64 v9, 0, 1, vcc
	v_add_u32_e32 v11, 0xfffffc10, v11
	v_cvt_f32_f16_e32 v10, v10
	v_or_b32_e32 v9, v13, v9
	v_lshl_or_b32 v12, v11, 12, v7
	v_cmp_gt_i32_e32 vcc, 1, v11
	v_cndmask_b32_e32 v9, v12, v9, vcc
	v_and_b32_e32 v12, 7, v9
	v_cmp_lt_i32_e32 vcc, 5, v12
	v_cmp_eq_u32_e64 s[2:3], 3, v12
	v_lshrrev_b32_e32 v12, 2, v9
	v_cvt_f64_f32_e32 v[9:10], v10
	s_or_b64 vcc, s[2:3], vcc
	v_addc_co_u32_e32 v12, vcc, 0, v12, vcc
	v_mul_f64 v[9:10], v[9:10], s[12:13]
	v_cmp_gt_i32_e32 vcc, 31, v11
	v_cndmask_b32_e32 v12, v2, v12, vcc
	v_cmp_ne_u32_e32 vcc, 0, v7
	v_cndmask_b32_e64 v7, 0, 1, vcc
	v_lshl_or_b32 v7, v7, 9, v2
	v_cmp_eq_u32_e32 vcc, s11, v11
	v_cndmask_b32_e32 v7, v12, v7, vcc
	v_lshrrev_b32_e32 v8, 16, v8
	v_and_or_b32 v13, v8, s14, v7
	v_and_or_b32 v7, v10, s15, v9
	v_cmp_ne_u32_e32 vcc, 0, v7
	v_cndmask_b32_e64 v7, 0, 1, vcc
	v_lshrrev_b32_e32 v8, 8, v10
	v_and_or_b32 v9, v8, s10, v7
	v_bfe_u32 v8, v10, 20, 11
	v_sub_u32_e32 v11, 0x3f1, v8
	v_or_b32_e32 v7, 0x1000, v9
	v_med3_i32 v11, v11, 0, 13
	v_lshrrev_b32_e32 v12, v11, v7
	v_lshlrev_b32_e32 v11, v11, v12
	v_cmp_ne_u32_e32 vcc, v11, v7
	v_cndmask_b32_e64 v7, 0, 1, vcc
	v_add_u32_e32 v14, 0xfffffc10, v8
	v_or_b32_e32 v7, v12, v7
	v_lshl_or_b32 v8, v14, 12, v9
	v_cmp_gt_i32_e32 vcc, 1, v14
	v_cndmask_b32_e32 v7, v8, v7, vcc
	v_and_b32_e32 v8, 7, v7
	v_cmp_lt_i32_e32 vcc, 5, v8
	v_cmp_eq_u32_e64 s[2:3], 3, v8
	v_lshrrev_b32_e32 v11, 2, v7
	ds_read2_b32 v[7:8], v41 offset0:192 offset1:248
	s_or_b64 vcc, s[2:3], vcc
	v_addc_co_u32_e32 v11, vcc, 0, v11, vcc
	v_cmp_gt_i32_e32 vcc, 31, v14
	s_waitcnt lgkmcnt(0)
	v_lshrrev_b32_e32 v16, 16, v7
	v_cndmask_b32_e32 v15, v2, v11, vcc
	v_mul_f16_sdwa v11, v64, v16 dst_sel:DWORD dst_unused:UNUSED_PAD src0_sel:WORD_1 src1_sel:DWORD
	v_fma_f16 v11, v64, v7, v11
	v_cvt_f32_f16_e32 v11, v11
	v_cmp_ne_u32_e32 vcc, 0, v9
	v_cndmask_b32_e64 v9, 0, 1, vcc
	v_lshl_or_b32 v9, v9, 9, v2
	v_cvt_f64_f32_e32 v[11:12], v11
	v_cmp_eq_u32_e32 vcc, s11, v14
	v_cndmask_b32_e32 v9, v15, v9, vcc
	v_lshrrev_b32_e32 v10, 16, v10
	v_and_or_b32 v14, v10, s14, v9
	v_mul_f64 v[9:10], v[11:12], s[12:13]
	v_add_co_u32_e32 v5, vcc, s6, v5
	v_and_b32_e32 v11, 0xffff, v13
	v_addc_co_u32_e32 v6, vcc, v6, v1, vcc
	v_lshl_or_b32 v11, v14, 16, v11
	global_store_dword v[5:6], v11, off
	v_and_or_b32 v9, v10, s15, v9
	v_cmp_ne_u32_e32 vcc, 0, v9
	v_cndmask_b32_e64 v9, 0, 1, vcc
	v_lshrrev_b32_e32 v11, 8, v10
	v_bfe_u32 v12, v10, 20, 11
	v_and_or_b32 v9, v11, s10, v9
	v_sub_u32_e32 v13, 0x3f1, v12
	v_or_b32_e32 v11, 0x1000, v9
	v_med3_i32 v13, v13, 0, 13
	v_lshrrev_b32_e32 v14, v13, v11
	v_lshlrev_b32_e32 v13, v13, v14
	v_mul_f16_sdwa v7, v64, v7 dst_sel:DWORD dst_unused:UNUSED_PAD src0_sel:WORD_1 src1_sel:DWORD
	v_cmp_ne_u32_e32 vcc, v13, v11
	v_fma_f16 v7, v64, v16, -v7
	v_cndmask_b32_e64 v11, 0, 1, vcc
	v_add_u32_e32 v13, 0xfffffc10, v12
	v_cvt_f32_f16_e32 v7, v7
	v_or_b32_e32 v11, v14, v11
	v_lshl_or_b32 v12, v13, 12, v9
	v_cmp_gt_i32_e32 vcc, 1, v13
	v_cndmask_b32_e32 v11, v12, v11, vcc
	v_and_b32_e32 v12, 7, v11
	v_cmp_lt_i32_e32 vcc, 5, v12
	v_cmp_eq_u32_e64 s[2:3], 3, v12
	v_lshrrev_b32_e32 v14, 2, v11
	v_cvt_f64_f32_e32 v[11:12], v7
	s_or_b64 vcc, s[2:3], vcc
	v_addc_co_u32_e32 v7, vcc, 0, v14, vcc
	v_mul_f64 v[11:12], v[11:12], s[12:13]
	v_cmp_gt_i32_e32 vcc, 31, v13
	v_cndmask_b32_e32 v7, v2, v7, vcc
	v_cmp_ne_u32_e32 vcc, 0, v9
	v_cndmask_b32_e64 v9, 0, 1, vcc
	v_lshl_or_b32 v9, v9, 9, v2
	v_cmp_eq_u32_e32 vcc, s11, v13
	v_cndmask_b32_e32 v7, v7, v9, vcc
	v_lshrrev_b32_e32 v9, 16, v10
	v_and_or_b32 v15, v9, s14, v7
	v_and_or_b32 v7, v12, s15, v11
	v_cmp_ne_u32_e32 vcc, 0, v7
	v_cndmask_b32_e64 v7, 0, 1, vcc
	v_lshrrev_b32_e32 v9, 8, v12
	v_bfe_u32 v10, v12, 20, 11
	v_and_or_b32 v7, v9, s10, v7
	v_sub_u32_e32 v11, 0x3f1, v10
	v_or_b32_e32 v9, 0x1000, v7
	v_med3_i32 v11, v11, 0, 13
	v_lshrrev_b32_e32 v13, v11, v9
	v_lshlrev_b32_e32 v11, v11, v13
	v_cmp_ne_u32_e32 vcc, v11, v9
	v_cndmask_b32_e64 v9, 0, 1, vcc
	v_add_u32_e32 v11, 0xfffffc10, v10
	v_or_b32_e32 v9, v13, v9
	v_lshl_or_b32 v10, v11, 12, v7
	v_cmp_gt_i32_e32 vcc, 1, v11
	v_cndmask_b32_e32 v9, v10, v9, vcc
	v_and_b32_e32 v10, 7, v9
	v_cmp_lt_i32_e32 vcc, 5, v10
	v_cmp_eq_u32_e64 s[2:3], 3, v10
	v_lshrrev_b32_e32 v9, 2, v9
	s_or_b64 vcc, s[2:3], vcc
	v_add_u32_e32 v13, 0x1000, v61
	v_addc_co_u32_e32 v9, vcc, 0, v9, vcc
	ds_read2_b32 v[13:14], v13 offset0:12 offset1:68
	v_cmp_gt_i32_e32 vcc, 31, v11
	v_cndmask_b32_e32 v16, v2, v9, vcc
	v_mad_u64_u32 v[9:10], s[2:3], s8, v66, 0
	v_cmp_ne_u32_e32 vcc, 0, v7
	v_cndmask_b32_e64 v7, 0, 1, vcc
	v_lshl_or_b32 v7, v7, 9, v2
	v_cmp_eq_u32_e32 vcc, s11, v11
	s_waitcnt lgkmcnt(0)
	v_lshrrev_b32_e32 v17, 16, v13
	v_cndmask_b32_e32 v16, v16, v7, vcc
	v_mov_b32_e32 v7, v10
	v_mul_f16_sdwa v10, v65, v17 dst_sel:DWORD dst_unused:UNUSED_PAD src0_sel:WORD_1 src1_sel:DWORD
	v_fma_f16 v10, v65, v13, v10
	v_cvt_f32_f16_e32 v18, v10
	v_mad_u64_u32 v[10:11], s[2:3], s9, v66, v[7:8]
	v_lshrrev_b32_e32 v7, 16, v12
	v_cvt_f64_f32_e32 v[11:12], v18
	v_lshlrev_b64 v[9:10], 2, v[9:10]
	v_and_or_b32 v7, v7, s14, v16
	v_add_co_u32_e32 v9, vcc, v0, v9
	v_mul_f64 v[11:12], v[11:12], s[12:13]
	v_and_b32_e32 v15, 0xffff, v15
	v_addc_co_u32_e32 v10, vcc, v3, v10, vcc
	v_lshl_or_b32 v7, v7, 16, v15
	global_store_dword v[9:10], v7, off
	v_and_or_b32 v0, v12, s15, v11
	v_cmp_ne_u32_e32 vcc, 0, v0
	v_cndmask_b32_e64 v0, 0, 1, vcc
	v_lshrrev_b32_e32 v3, 8, v12
	v_bfe_u32 v7, v12, 20, 11
	v_and_or_b32 v0, v3, s10, v0
	v_sub_u32_e32 v9, 0x3f1, v7
	v_or_b32_e32 v3, 0x1000, v0
	v_med3_i32 v9, v9, 0, 13
	v_lshrrev_b32_e32 v10, v9, v3
	v_lshlrev_b32_e32 v9, v9, v10
	v_cmp_ne_u32_e32 vcc, v9, v3
	v_cndmask_b32_e64 v3, 0, 1, vcc
	v_or_b32_e32 v3, v10, v3
	v_mul_f16_sdwa v10, v65, v13 dst_sel:DWORD dst_unused:UNUSED_PAD src0_sel:WORD_1 src1_sel:DWORD
	v_fma_f16 v10, v65, v17, -v10
	v_add_u32_e32 v7, 0xfffffc10, v7
	v_cvt_f32_f16_e32 v10, v10
	v_lshl_or_b32 v9, v7, 12, v0
	v_cmp_gt_i32_e32 vcc, 1, v7
	v_cndmask_b32_e32 v3, v9, v3, vcc
	v_and_b32_e32 v9, 7, v3
	v_cmp_lt_i32_e32 vcc, 5, v9
	v_cmp_eq_u32_e64 s[2:3], 3, v9
	v_cvt_f64_f32_e32 v[9:10], v10
	v_lshrrev_b32_e32 v3, 2, v3
	s_or_b64 vcc, s[2:3], vcc
	v_addc_co_u32_e32 v3, vcc, 0, v3, vcc
	v_mul_f64 v[9:10], v[9:10], s[12:13]
	v_cmp_gt_i32_e32 vcc, 31, v7
	v_cndmask_b32_e32 v3, v2, v3, vcc
	v_cmp_ne_u32_e32 vcc, 0, v0
	v_cndmask_b32_e64 v0, 0, 1, vcc
	v_lshl_or_b32 v0, v0, 9, v2
	v_cmp_eq_u32_e32 vcc, s11, v7
	v_cndmask_b32_e32 v0, v3, v0, vcc
	v_lshrrev_b32_e32 v3, 16, v12
	v_and_or_b32 v0, v3, s14, v0
	v_and_or_b32 v3, v10, s15, v9
	v_cmp_ne_u32_e32 vcc, 0, v3
	v_cndmask_b32_e64 v3, 0, 1, vcc
	v_lshrrev_b32_e32 v7, 8, v10
	v_bfe_u32 v9, v10, 20, 11
	v_and_or_b32 v3, v7, s10, v3
	v_sub_u32_e32 v11, 0x3f1, v9
	v_or_b32_e32 v7, 0x1000, v3
	v_med3_i32 v11, v11, 0, 13
	v_lshrrev_b32_e32 v12, v11, v7
	v_lshlrev_b32_e32 v11, v11, v12
	v_cmp_ne_u32_e32 vcc, v11, v7
	v_cndmask_b32_e64 v7, 0, 1, vcc
	v_add_u32_e32 v9, 0xfffffc10, v9
	v_or_b32_e32 v7, v12, v7
	v_lshl_or_b32 v11, v9, 12, v3
	v_cmp_gt_i32_e32 vcc, 1, v9
	v_cndmask_b32_e32 v7, v11, v7, vcc
	v_and_b32_e32 v11, 7, v7
	v_lshrrev_b32_e32 v13, 16, v8
	v_cmp_lt_i32_e32 vcc, 5, v11
	v_cmp_eq_u32_e64 s[2:3], 3, v11
	v_mul_f16_sdwa v11, v63, v13 dst_sel:DWORD dst_unused:UNUSED_PAD src0_sel:WORD_1 src1_sel:DWORD
	v_fma_f16 v11, v63, v8, v11
	v_cvt_f32_f16_e32 v11, v11
	v_lshrrev_b32_e32 v7, 2, v7
	s_or_b64 vcc, s[2:3], vcc
	v_addc_co_u32_e32 v7, vcc, 0, v7, vcc
	v_cmp_gt_i32_e32 vcc, 31, v9
	v_cvt_f64_f32_e32 v[11:12], v11
	v_cndmask_b32_e32 v7, v2, v7, vcc
	v_cmp_ne_u32_e32 vcc, 0, v3
	v_cndmask_b32_e64 v3, 0, 1, vcc
	v_lshl_or_b32 v3, v3, 9, v2
	v_cmp_eq_u32_e32 vcc, s11, v9
	v_cndmask_b32_e32 v3, v7, v3, vcc
	v_lshrrev_b32_e32 v7, 16, v10
	v_mul_f64 v[9:10], v[11:12], s[12:13]
	v_and_or_b32 v3, v7, s14, v3
	v_mov_b32_e32 v7, 0xe0
	v_mad_u64_u32 v[5:6], s[2:3], s8, v7, v[5:6]
	v_and_b32_e32 v0, 0xffff, v0
	s_mul_i32 s2, s9, 0xe0
	v_lshl_or_b32 v0, v3, 16, v0
	v_add_u32_e32 v6, s2, v6
	global_store_dword v[5:6], v0, off
	v_and_or_b32 v0, v10, s15, v9
	v_cmp_ne_u32_e32 vcc, 0, v0
	v_cndmask_b32_e64 v0, 0, 1, vcc
	v_lshrrev_b32_e32 v3, 8, v10
	v_bfe_u32 v7, v10, 20, 11
	v_and_or_b32 v0, v3, s10, v0
	v_sub_u32_e32 v9, 0x3f1, v7
	v_or_b32_e32 v3, 0x1000, v0
	v_med3_i32 v9, v9, 0, 13
	v_lshrrev_b32_e32 v11, v9, v3
	v_lshlrev_b32_e32 v9, v9, v11
	v_mul_f16_sdwa v8, v63, v8 dst_sel:DWORD dst_unused:UNUSED_PAD src0_sel:WORD_1 src1_sel:DWORD
	v_cmp_ne_u32_e32 vcc, v9, v3
	v_fma_f16 v8, v63, v13, -v8
	v_cndmask_b32_e64 v3, 0, 1, vcc
	v_add_u32_e32 v9, 0xfffffc10, v7
	v_cvt_f32_f16_e32 v8, v8
	v_or_b32_e32 v3, v11, v3
	v_lshl_or_b32 v7, v9, 12, v0
	v_cmp_gt_i32_e32 vcc, 1, v9
	v_cndmask_b32_e32 v3, v7, v3, vcc
	v_and_b32_e32 v7, 7, v3
	v_cmp_lt_i32_e32 vcc, 5, v7
	v_cmp_eq_u32_e64 s[2:3], 3, v7
	v_cvt_f64_f32_e32 v[7:8], v8
	v_lshrrev_b32_e32 v3, 2, v3
	s_or_b64 vcc, s[2:3], vcc
	v_addc_co_u32_e32 v3, vcc, 0, v3, vcc
	v_mul_f64 v[7:8], v[7:8], s[12:13]
	v_cmp_gt_i32_e32 vcc, 31, v9
	v_cndmask_b32_e32 v3, v2, v3, vcc
	v_cmp_ne_u32_e32 vcc, 0, v0
	v_cndmask_b32_e64 v0, 0, 1, vcc
	v_lshl_or_b32 v0, v0, 9, v2
	v_cmp_eq_u32_e32 vcc, s11, v9
	v_cndmask_b32_e32 v0, v3, v0, vcc
	v_lshrrev_b32_e32 v3, 16, v10
	v_and_or_b32 v0, v3, s14, v0
	v_and_or_b32 v3, v8, s15, v7
	v_cmp_ne_u32_e32 vcc, 0, v3
	v_cndmask_b32_e64 v3, 0, 1, vcc
	v_lshrrev_b32_e32 v7, 8, v8
	v_bfe_u32 v9, v8, 20, 11
	v_and_or_b32 v3, v7, s10, v3
	v_sub_u32_e32 v10, 0x3f1, v9
	v_or_b32_e32 v7, 0x1000, v3
	v_med3_i32 v10, v10, 0, 13
	v_lshrrev_b32_e32 v11, v10, v7
	v_lshlrev_b32_e32 v10, v10, v11
	v_cmp_ne_u32_e32 vcc, v10, v7
	v_cndmask_b32_e64 v7, 0, 1, vcc
	v_or_b32_e32 v7, v11, v7
	v_add_u32_e32 v11, 0xfffffc10, v9
	v_lshl_or_b32 v9, v11, 12, v3
	v_cmp_gt_i32_e32 vcc, 1, v11
	v_cndmask_b32_e32 v7, v9, v7, vcc
	v_and_b32_e32 v9, 7, v7
	v_lshrrev_b32_e32 v12, 16, v14
	v_cmp_lt_i32_e32 vcc, 5, v9
	v_cmp_eq_u32_e64 s[2:3], 3, v9
	v_mul_f16_sdwa v9, v62, v12 dst_sel:DWORD dst_unused:UNUSED_PAD src0_sel:WORD_1 src1_sel:DWORD
	v_fma_f16 v9, v62, v14, v9
	v_cvt_f32_f16_e32 v9, v9
	v_lshrrev_b32_e32 v7, 2, v7
	s_or_b64 vcc, s[2:3], vcc
	v_addc_co_u32_e32 v7, vcc, 0, v7, vcc
	v_cmp_gt_i32_e32 vcc, 31, v11
	v_cndmask_b32_e32 v7, v2, v7, vcc
	v_cmp_ne_u32_e32 vcc, 0, v3
	v_cvt_f64_f32_e32 v[9:10], v9
	v_cndmask_b32_e64 v3, 0, 1, vcc
	v_lshl_or_b32 v3, v3, 9, v2
	v_cmp_eq_u32_e32 vcc, s11, v11
	v_cndmask_b32_e32 v3, v7, v3, vcc
	v_lshrrev_b32_e32 v7, 16, v8
	v_and_or_b32 v3, v7, s14, v3
	v_mul_f64 v[7:8], v[9:10], s[12:13]
	v_and_b32_e32 v0, 0xffff, v0
	v_lshl_or_b32 v0, v3, 16, v0
	v_add_co_u32_e32 v3, vcc, s4, v5
	v_addc_co_u32_e32 v4, vcc, v6, v4, vcc
	global_store_dword v[3:4], v0, off
	v_and_or_b32 v0, v8, s15, v7
	v_cmp_ne_u32_e32 vcc, 0, v0
	v_cndmask_b32_e64 v0, 0, 1, vcc
	v_lshrrev_b32_e32 v5, 8, v8
	v_bfe_u32 v6, v8, 20, 11
	v_and_or_b32 v0, v5, s10, v0
	v_sub_u32_e32 v7, 0x3f1, v6
	v_or_b32_e32 v5, 0x1000, v0
	v_med3_i32 v7, v7, 0, 13
	v_lshrrev_b32_e32 v9, v7, v5
	v_lshlrev_b32_e32 v7, v7, v9
	v_cmp_ne_u32_e32 vcc, v7, v5
	v_cndmask_b32_e64 v5, 0, 1, vcc
	v_or_b32_e32 v5, v9, v5
	v_mul_f16_sdwa v9, v62, v14 dst_sel:DWORD dst_unused:UNUSED_PAD src0_sel:WORD_1 src1_sel:DWORD
	v_fma_f16 v9, v62, v12, -v9
	v_add_u32_e32 v7, 0xfffffc10, v6
	v_cvt_f32_f16_e32 v9, v9
	v_lshl_or_b32 v6, v7, 12, v0
	v_cmp_gt_i32_e32 vcc, 1, v7
	v_cndmask_b32_e32 v5, v6, v5, vcc
	v_and_b32_e32 v6, 7, v5
	v_cmp_lt_i32_e32 vcc, 5, v6
	v_cmp_eq_u32_e64 s[2:3], 3, v6
	v_lshrrev_b32_e32 v10, 2, v5
	v_cvt_f64_f32_e32 v[5:6], v9
	s_or_b64 vcc, s[2:3], vcc
	v_addc_co_u32_e32 v9, vcc, 0, v10, vcc
	v_mul_f64 v[5:6], v[5:6], s[12:13]
	v_cmp_gt_i32_e32 vcc, 31, v7
	v_cndmask_b32_e32 v9, v2, v9, vcc
	v_cmp_ne_u32_e32 vcc, 0, v0
	v_cndmask_b32_e64 v0, 0, 1, vcc
	v_lshl_or_b32 v0, v0, 9, v2
	v_cmp_eq_u32_e32 vcc, s11, v7
	v_cndmask_b32_e32 v0, v9, v0, vcc
	v_and_or_b32 v5, v6, s15, v5
	v_lshrrev_b32_e32 v7, 16, v8
	v_cmp_ne_u32_e32 vcc, 0, v5
	v_and_or_b32 v0, v7, s14, v0
	v_cndmask_b32_e64 v5, 0, 1, vcc
	v_lshrrev_b32_e32 v7, 8, v6
	v_bfe_u32 v8, v6, 20, 11
	v_and_or_b32 v5, v7, s10, v5
	v_sub_u32_e32 v9, 0x3f1, v8
	v_or_b32_e32 v7, 0x1000, v5
	v_med3_i32 v9, v9, 0, 13
	v_lshrrev_b32_e32 v10, v9, v7
	v_lshlrev_b32_e32 v9, v9, v10
	v_cmp_ne_u32_e32 vcc, v9, v7
	v_cndmask_b32_e64 v7, 0, 1, vcc
	v_add_u32_e32 v8, 0xfffffc10, v8
	v_or_b32_e32 v7, v10, v7
	v_lshl_or_b32 v9, v8, 12, v5
	v_cmp_gt_i32_e32 vcc, 1, v8
	v_cndmask_b32_e32 v7, v9, v7, vcc
	v_and_b32_e32 v9, 7, v7
	v_cmp_lt_i32_e32 vcc, 5, v9
	v_cmp_eq_u32_e64 s[2:3], 3, v9
	v_lshrrev_b32_e32 v7, 2, v7
	s_or_b64 vcc, s[2:3], vcc
	v_addc_co_u32_e32 v7, vcc, 0, v7, vcc
	v_cmp_gt_i32_e32 vcc, 31, v8
	v_cndmask_b32_e32 v7, v2, v7, vcc
	v_cmp_ne_u32_e32 vcc, 0, v5
	v_cndmask_b32_e64 v5, 0, 1, vcc
	v_lshl_or_b32 v5, v5, 9, v2
	v_cmp_eq_u32_e32 vcc, s11, v8
	v_cndmask_b32_e32 v5, v7, v5, vcc
	v_lshrrev_b32_e32 v6, 16, v6
	v_and_or_b32 v5, v6, s14, v5
	v_and_b32_e32 v0, 0xffff, v0
	v_lshl_or_b32 v5, v5, 16, v0
	v_add_co_u32_e32 v0, vcc, s6, v3
	v_addc_co_u32_e32 v1, vcc, v4, v1, vcc
	global_store_dword v[0:1], v5, off
	s_and_b64 exec, exec, s[0:1]
	s_cbranch_execz .LBB0_31
; %bb.30:
	global_load_dword v3, v[24:25], off offset:2240
	ds_read_b32 v4, v61 offset:2240
	ds_read_b32 v9, v61 offset:4592
	v_add_co_u32_e32 v7, vcc, s16, v24
	v_addc_co_u32_e32 v8, vcc, 0, v25, vcc
	s_waitcnt lgkmcnt(1)
	v_lshrrev_b32_e32 v5, 16, v4
	v_mov_b32_e32 v10, s5
	v_add_co_u32_e32 v0, vcc, s4, v0
	v_addc_co_u32_e32 v1, vcc, v1, v10, vcc
	s_waitcnt vmcnt(0)
	v_mul_f16_sdwa v6, v5, v3 dst_sel:DWORD dst_unused:UNUSED_PAD src0_sel:DWORD src1_sel:WORD_1
	v_fma_f16 v6, v4, v3, v6
	v_mul_f16_sdwa v4, v4, v3 dst_sel:DWORD dst_unused:UNUSED_PAD src0_sel:DWORD src1_sel:WORD_1
	v_cvt_f32_f16_e32 v6, v6
	v_fma_f16 v3, v3, v5, -v4
	v_cvt_f32_f16_e32 v5, v3
	v_cvt_f64_f32_e32 v[3:4], v6
	v_cvt_f64_f32_e32 v[5:6], v5
	v_mul_f64 v[3:4], v[3:4], s[12:13]
	v_mul_f64 v[5:6], v[5:6], s[12:13]
	v_and_or_b32 v3, v4, s15, v3
	v_cmp_ne_u32_e32 vcc, 0, v3
	v_and_or_b32 v5, v6, s15, v5
	v_lshrrev_b32_e32 v10, 8, v4
	v_bfe_u32 v11, v4, 20, 11
	v_cndmask_b32_e64 v3, 0, 1, vcc
	v_cmp_ne_u32_e32 vcc, 0, v5
	v_lshrrev_b32_e32 v12, 8, v6
	v_bfe_u32 v13, v6, 20, 11
	v_sub_u32_e32 v14, 0x3f1, v11
	v_cndmask_b32_e64 v5, 0, 1, vcc
	v_and_or_b32 v3, v10, s10, v3
	v_sub_u32_e32 v15, 0x3f1, v13
	v_med3_i32 v10, v14, 0, 13
	v_and_or_b32 v5, v12, s10, v5
	v_or_b32_e32 v14, 0x1000, v3
	v_add_u32_e32 v11, 0xfffffc10, v11
	v_med3_i32 v12, v15, 0, 13
	v_cmp_ne_u32_e32 vcc, 0, v3
	v_or_b32_e32 v16, 0x1000, v5
	v_lshrrev_b32_e32 v18, v10, v14
	v_add_u32_e32 v13, 0xfffffc10, v13
	v_lshl_or_b32 v15, v11, 12, v3
	v_cndmask_b32_e64 v3, 0, 1, vcc
	v_cmp_ne_u32_e32 vcc, 0, v5
	v_lshrrev_b32_e32 v19, v12, v16
	v_lshlrev_b32_e32 v10, v10, v18
	v_lshl_or_b32 v17, v13, 12, v5
	v_cndmask_b32_e64 v5, 0, 1, vcc
	v_lshlrev_b32_e32 v12, v12, v19
	v_cmp_ne_u32_e32 vcc, v10, v14
	v_cndmask_b32_e64 v10, 0, 1, vcc
	v_cmp_ne_u32_e32 vcc, v12, v16
	v_cndmask_b32_e64 v12, 0, 1, vcc
	v_or_b32_e32 v10, v18, v10
	v_cmp_gt_i32_e32 vcc, 1, v11
	v_cndmask_b32_e32 v10, v15, v10, vcc
	v_or_b32_e32 v12, v19, v12
	v_cmp_gt_i32_e32 vcc, 1, v13
	v_and_b32_e32 v14, 7, v10
	v_cndmask_b32_e32 v12, v17, v12, vcc
	v_cmp_lt_i32_e32 vcc, 5, v14
	v_cmp_eq_u32_e64 s[0:1], 3, v14
	v_lshrrev_b32_e32 v10, 2, v10
	v_and_b32_e32 v15, 7, v12
	s_or_b64 vcc, s[0:1], vcc
	v_cmp_lt_i32_e64 s[2:3], 5, v15
	v_cmp_eq_u32_e64 s[4:5], 3, v15
	v_addc_co_u32_e32 v10, vcc, 0, v10, vcc
	v_lshrrev_b32_e32 v12, 2, v12
	s_or_b64 vcc, s[4:5], s[2:3]
	v_addc_co_u32_e32 v12, vcc, 0, v12, vcc
	v_cmp_gt_i32_e32 vcc, 31, v11
	v_cndmask_b32_e32 v10, v2, v10, vcc
	v_cmp_gt_i32_e32 vcc, 31, v13
	v_lshl_or_b32 v3, v3, 9, v2
	v_cndmask_b32_e32 v12, v2, v12, vcc
	v_cmp_eq_u32_e32 vcc, s11, v11
	v_lshrrev_b32_e32 v4, 16, v4
	v_lshl_or_b32 v5, v5, 9, v2
	v_cndmask_b32_e32 v3, v10, v3, vcc
	v_cmp_eq_u32_e32 vcc, s11, v13
	v_lshrrev_b32_e32 v6, 16, v6
	v_cndmask_b32_e32 v5, v12, v5, vcc
	v_and_or_b32 v3, v4, s14, v3
	v_and_or_b32 v4, v6, s14, v5
	v_and_b32_e32 v3, 0xffff, v3
	v_lshl_or_b32 v3, v4, 16, v3
	global_store_dword v[0:1], v3, off
	global_load_dword v3, v[7:8], off offset:496
	s_waitcnt lgkmcnt(0)
	v_lshrrev_b32_e32 v4, 16, v9
	v_mov_b32_e32 v7, s7
	s_waitcnt vmcnt(0)
	v_mul_f16_sdwa v5, v4, v3 dst_sel:DWORD dst_unused:UNUSED_PAD src0_sel:DWORD src1_sel:WORD_1
	v_fma_f16 v5, v9, v3, v5
	v_mul_f16_sdwa v6, v9, v3 dst_sel:DWORD dst_unused:UNUSED_PAD src0_sel:DWORD src1_sel:WORD_1
	v_cvt_f32_f16_e32 v5, v5
	v_fma_f16 v3, v3, v4, -v6
	v_cvt_f32_f16_e32 v6, v3
	v_cvt_f64_f32_e32 v[3:4], v5
	v_cvt_f64_f32_e32 v[5:6], v6
	v_mul_f64 v[3:4], v[3:4], s[12:13]
	v_mul_f64 v[5:6], v[5:6], s[12:13]
	v_and_or_b32 v3, v4, s15, v3
	v_cmp_ne_u32_e32 vcc, 0, v3
	v_and_or_b32 v5, v6, s15, v5
	v_lshrrev_b32_e32 v8, 8, v4
	v_bfe_u32 v9, v4, 20, 11
	v_cndmask_b32_e64 v3, 0, 1, vcc
	v_cmp_ne_u32_e32 vcc, 0, v5
	v_lshrrev_b32_e32 v10, 8, v6
	v_bfe_u32 v11, v6, 20, 11
	v_sub_u32_e32 v12, 0x3f1, v9
	v_cndmask_b32_e64 v5, 0, 1, vcc
	v_and_or_b32 v3, v8, s10, v3
	v_sub_u32_e32 v13, 0x3f1, v11
	v_med3_i32 v8, v12, 0, 13
	v_and_or_b32 v5, v10, s10, v5
	v_or_b32_e32 v12, 0x1000, v3
	v_add_u32_e32 v9, 0xfffffc10, v9
	v_med3_i32 v10, v13, 0, 13
	v_cmp_ne_u32_e32 vcc, 0, v3
	v_or_b32_e32 v14, 0x1000, v5
	v_lshrrev_b32_e32 v16, v8, v12
	v_add_u32_e32 v11, 0xfffffc10, v11
	v_lshl_or_b32 v13, v9, 12, v3
	v_cndmask_b32_e64 v3, 0, 1, vcc
	v_cmp_ne_u32_e32 vcc, 0, v5
	v_lshrrev_b32_e32 v17, v10, v14
	v_lshlrev_b32_e32 v8, v8, v16
	v_lshl_or_b32 v15, v11, 12, v5
	v_cndmask_b32_e64 v5, 0, 1, vcc
	v_lshlrev_b32_e32 v10, v10, v17
	v_cmp_ne_u32_e32 vcc, v8, v12
	v_cndmask_b32_e64 v8, 0, 1, vcc
	v_cmp_ne_u32_e32 vcc, v10, v14
	v_cndmask_b32_e64 v10, 0, 1, vcc
	v_or_b32_e32 v8, v16, v8
	v_cmp_gt_i32_e32 vcc, 1, v9
	v_cndmask_b32_e32 v8, v13, v8, vcc
	v_or_b32_e32 v10, v17, v10
	v_cmp_gt_i32_e32 vcc, 1, v11
	v_and_b32_e32 v12, 7, v8
	v_cndmask_b32_e32 v10, v15, v10, vcc
	v_cmp_lt_i32_e32 vcc, 5, v12
	v_cmp_eq_u32_e64 s[0:1], 3, v12
	v_lshrrev_b32_e32 v8, 2, v8
	v_and_b32_e32 v13, 7, v10
	s_or_b64 vcc, s[0:1], vcc
	v_cmp_lt_i32_e64 s[2:3], 5, v13
	v_cmp_eq_u32_e64 s[4:5], 3, v13
	v_addc_co_u32_e32 v8, vcc, 0, v8, vcc
	v_lshrrev_b32_e32 v10, 2, v10
	s_or_b64 vcc, s[4:5], s[2:3]
	v_addc_co_u32_e32 v10, vcc, 0, v10, vcc
	v_cmp_gt_i32_e32 vcc, 31, v9
	v_cndmask_b32_e32 v8, v2, v8, vcc
	v_cmp_gt_i32_e32 vcc, 31, v11
	v_lshl_or_b32 v3, v3, 9, v2
	v_lshl_or_b32 v5, v5, 9, v2
	v_cndmask_b32_e32 v2, v2, v10, vcc
	v_cmp_eq_u32_e32 vcc, s11, v9
	v_lshrrev_b32_e32 v4, 16, v4
	v_cndmask_b32_e32 v3, v8, v3, vcc
	v_cmp_eq_u32_e32 vcc, s11, v11
	v_lshrrev_b32_e32 v6, 16, v6
	v_cndmask_b32_e32 v2, v2, v5, vcc
	v_and_or_b32 v3, v4, s14, v3
	v_and_or_b32 v2, v6, s14, v2
	v_and_b32_e32 v3, 0xffff, v3
	v_add_co_u32_e32 v0, vcc, s6, v0
	v_lshl_or_b32 v2, v2, 16, v3
	v_addc_co_u32_e32 v1, vcc, v1, v7, vcc
	global_store_dword v[0:1], v2, off
.LBB0_31:
	s_endpgm
	.section	.rodata,"a",@progbits
	.p2align	6, 0x0
	.amdhsa_kernel bluestein_single_back_len1176_dim1_half_op_CI_CI
		.amdhsa_group_segment_fixed_size 4704
		.amdhsa_private_segment_fixed_size 0
		.amdhsa_kernarg_size 104
		.amdhsa_user_sgpr_count 6
		.amdhsa_user_sgpr_private_segment_buffer 1
		.amdhsa_user_sgpr_dispatch_ptr 0
		.amdhsa_user_sgpr_queue_ptr 0
		.amdhsa_user_sgpr_kernarg_segment_ptr 1
		.amdhsa_user_sgpr_dispatch_id 0
		.amdhsa_user_sgpr_flat_scratch_init 0
		.amdhsa_user_sgpr_private_segment_size 0
		.amdhsa_uses_dynamic_stack 0
		.amdhsa_system_sgpr_private_segment_wavefront_offset 0
		.amdhsa_system_sgpr_workgroup_id_x 1
		.amdhsa_system_sgpr_workgroup_id_y 0
		.amdhsa_system_sgpr_workgroup_id_z 0
		.amdhsa_system_sgpr_workgroup_info 0
		.amdhsa_system_vgpr_workitem_id 0
		.amdhsa_next_free_vgpr 169
		.amdhsa_next_free_sgpr 20
		.amdhsa_reserve_vcc 1
		.amdhsa_reserve_flat_scratch 0
		.amdhsa_float_round_mode_32 0
		.amdhsa_float_round_mode_16_64 0
		.amdhsa_float_denorm_mode_32 3
		.amdhsa_float_denorm_mode_16_64 3
		.amdhsa_dx10_clamp 1
		.amdhsa_ieee_mode 1
		.amdhsa_fp16_overflow 0
		.amdhsa_exception_fp_ieee_invalid_op 0
		.amdhsa_exception_fp_denorm_src 0
		.amdhsa_exception_fp_ieee_div_zero 0
		.amdhsa_exception_fp_ieee_overflow 0
		.amdhsa_exception_fp_ieee_underflow 0
		.amdhsa_exception_fp_ieee_inexact 0
		.amdhsa_exception_int_div_zero 0
	.end_amdhsa_kernel
	.text
.Lfunc_end0:
	.size	bluestein_single_back_len1176_dim1_half_op_CI_CI, .Lfunc_end0-bluestein_single_back_len1176_dim1_half_op_CI_CI
                                        ; -- End function
	.section	.AMDGPU.csdata,"",@progbits
; Kernel info:
; codeLenInByte = 33956
; NumSgprs: 24
; NumVgprs: 169
; ScratchSize: 0
; MemoryBound: 0
; FloatMode: 240
; IeeeMode: 1
; LDSByteSize: 4704 bytes/workgroup (compile time only)
; SGPRBlocks: 2
; VGPRBlocks: 42
; NumSGPRsForWavesPerEU: 24
; NumVGPRsForWavesPerEU: 169
; Occupancy: 1
; WaveLimiterHint : 1
; COMPUTE_PGM_RSRC2:SCRATCH_EN: 0
; COMPUTE_PGM_RSRC2:USER_SGPR: 6
; COMPUTE_PGM_RSRC2:TRAP_HANDLER: 0
; COMPUTE_PGM_RSRC2:TGID_X_EN: 1
; COMPUTE_PGM_RSRC2:TGID_Y_EN: 0
; COMPUTE_PGM_RSRC2:TGID_Z_EN: 0
; COMPUTE_PGM_RSRC2:TIDIG_COMP_CNT: 0
	.type	__hip_cuid_54934bca7dbd98b4,@object ; @__hip_cuid_54934bca7dbd98b4
	.section	.bss,"aw",@nobits
	.globl	__hip_cuid_54934bca7dbd98b4
__hip_cuid_54934bca7dbd98b4:
	.byte	0                               ; 0x0
	.size	__hip_cuid_54934bca7dbd98b4, 1

	.ident	"AMD clang version 19.0.0git (https://github.com/RadeonOpenCompute/llvm-project roc-6.4.0 25133 c7fe45cf4b819c5991fe208aaa96edf142730f1d)"
	.section	".note.GNU-stack","",@progbits
	.addrsig
	.addrsig_sym __hip_cuid_54934bca7dbd98b4
	.amdgpu_metadata
---
amdhsa.kernels:
  - .args:
      - .actual_access:  read_only
        .address_space:  global
        .offset:         0
        .size:           8
        .value_kind:     global_buffer
      - .actual_access:  read_only
        .address_space:  global
        .offset:         8
        .size:           8
        .value_kind:     global_buffer
      - .actual_access:  read_only
        .address_space:  global
        .offset:         16
        .size:           8
        .value_kind:     global_buffer
      - .actual_access:  read_only
        .address_space:  global
        .offset:         24
        .size:           8
        .value_kind:     global_buffer
      - .actual_access:  read_only
        .address_space:  global
        .offset:         32
        .size:           8
        .value_kind:     global_buffer
      - .offset:         40
        .size:           8
        .value_kind:     by_value
      - .address_space:  global
        .offset:         48
        .size:           8
        .value_kind:     global_buffer
      - .address_space:  global
        .offset:         56
        .size:           8
        .value_kind:     global_buffer
      - .address_space:  global
        .offset:         64
        .size:           8
        .value_kind:     global_buffer
      - .address_space:  global
        .offset:         72
        .size:           8
        .value_kind:     global_buffer
      - .offset:         80
        .size:           4
        .value_kind:     by_value
      - .address_space:  global
        .offset:         88
        .size:           8
        .value_kind:     global_buffer
      - .address_space:  global
        .offset:         96
        .size:           8
        .value_kind:     global_buffer
    .group_segment_fixed_size: 4704
    .kernarg_segment_align: 8
    .kernarg_segment_size: 104
    .language:       OpenCL C
    .language_version:
      - 2
      - 0
    .max_flat_workgroup_size: 56
    .name:           bluestein_single_back_len1176_dim1_half_op_CI_CI
    .private_segment_fixed_size: 0
    .sgpr_count:     24
    .sgpr_spill_count: 0
    .symbol:         bluestein_single_back_len1176_dim1_half_op_CI_CI.kd
    .uniform_work_group_size: 1
    .uses_dynamic_stack: false
    .vgpr_count:     169
    .vgpr_spill_count: 0
    .wavefront_size: 64
amdhsa.target:   amdgcn-amd-amdhsa--gfx906
amdhsa.version:
  - 1
  - 2
...

	.end_amdgpu_metadata
